;; amdgpu-corpus repo=ROCm/rocFFT kind=compiled arch=gfx906 opt=O3
	.text
	.amdgcn_target "amdgcn-amd-amdhsa--gfx906"
	.amdhsa_code_object_version 6
	.protected	bluestein_single_fwd_len2160_dim1_dp_op_CI_CI ; -- Begin function bluestein_single_fwd_len2160_dim1_dp_op_CI_CI
	.globl	bluestein_single_fwd_len2160_dim1_dp_op_CI_CI
	.p2align	8
	.type	bluestein_single_fwd_len2160_dim1_dp_op_CI_CI,@function
bluestein_single_fwd_len2160_dim1_dp_op_CI_CI: ; @bluestein_single_fwd_len2160_dim1_dp_op_CI_CI
; %bb.0:
	s_load_dwordx4 s[12:15], s[4:5], 0x28
	s_mov_b64 s[26:27], s[2:3]
	v_mul_u32_u24_e32 v1, 0x445, v0
	s_mov_b64 s[24:25], s[0:1]
	v_add_u32_sdwa v4, s6, v1 dst_sel:DWORD dst_unused:UNUSED_PAD src0_sel:DWORD src1_sel:WORD_1
	v_mov_b32_e32 v5, 0
	s_add_u32 s24, s24, s7
	s_waitcnt lgkmcnt(0)
	v_cmp_gt_u64_e32 vcc, s[12:13], v[4:5]
	s_addc_u32 s25, s25, 0
	s_and_saveexec_b64 s[0:1], vcc
	s_cbranch_execz .LBB0_15
; %bb.1:
	s_load_dwordx4 s[0:3], s[4:5], 0x18
	s_load_dwordx2 s[12:13], s[4:5], 0x0
	v_mov_b32_e32 v2, 60
	v_mul_lo_u16_sdwa v1, v1, v2 dst_sel:DWORD dst_unused:UNUSED_PAD src0_sel:WORD_1 src1_sel:DWORD
	v_sub_u16_e32 v204, v0, v1
	s_waitcnt lgkmcnt(0)
	s_load_dwordx4 s[8:11], s[0:1], 0x0
	v_mov_b32_e32 v5, v4
	buffer_store_dword v5, off, s[24:27], 0 offset:72 ; 4-byte Folded Spill
	s_nop 0
	buffer_store_dword v6, off, s[24:27], 0 offset:76 ; 4-byte Folded Spill
	v_lshlrev_b32_e32 v160, 4, v204
	global_load_dwordx4 v[79:82], v160, s[12:13]
	s_waitcnt lgkmcnt(0)
	v_mad_u64_u32 v[0:1], s[0:1], s10, v4, 0
	v_mad_u64_u32 v[2:3], s[0:1], s8, v204, 0
	v_or_b32_e32 v26, 0x6c0, v204
	s_movk_i32 s6, 0x5000
	v_mad_u64_u32 v[4:5], s[0:1], s11, v4, v[1:2]
	v_mov_b32_e32 v67, 0x1b00
	s_movk_i32 s7, 0x6000
	v_mad_u64_u32 v[5:6], s[0:1], s9, v204, v[3:4]
	v_mov_b32_e32 v1, v4
	v_lshlrev_b64 v[0:1], 4, v[0:1]
	v_mov_b32_e32 v6, s15
	v_mov_b32_e32 v3, v5
	v_add_co_u32_e32 v65, vcc, s14, v0
	v_addc_co_u32_e32 v66, vcc, v6, v1, vcc
	v_lshlrev_b64 v[0:1], 4, v[2:3]
	s_mul_i32 s0, s9, 0xd8
	v_add_co_u32_e32 v0, vcc, v65, v0
	v_addc_co_u32_e32 v1, vcc, v66, v1, vcc
	s_mul_hi_u32 s1, s8, 0xd8
	v_mov_b32_e32 v2, s13
	v_add_co_u32_e32 v121, vcc, s12, v160
	s_add_i32 s1, s1, s0
	s_mul_i32 s0, s8, 0xd8
	v_addc_co_u32_e32 v122, vcc, 0, v2, vcc
	s_lshl_b64 s[14:15], s[0:1], 4
	v_mov_b32_e32 v64, s15
	v_add_co_u32_e32 v2, vcc, s14, v0
	v_addc_co_u32_e32 v3, vcc, v1, v64, vcc
	global_load_dwordx4 v[69:72], v[0:1], off
	global_load_dwordx4 v[8:11], v[2:3], off
	global_load_dwordx4 v[91:94], v160, s[12:13] offset:3456
	v_add_co_u32_e32 v0, vcc, s14, v2
	v_addc_co_u32_e32 v1, vcc, v3, v64, vcc
	s_movk_i32 s0, 0x1000
	v_add_co_u32_e32 v56, vcc, s0, v121
	v_addc_co_u32_e32 v57, vcc, 0, v122, vcc
	global_load_dwordx4 v[12:15], v[0:1], off
	v_add_co_u32_e32 v0, vcc, s14, v0
	v_addc_co_u32_e32 v1, vcc, v1, v64, vcc
	s_movk_i32 s0, 0x2000
	v_add_co_u32_e32 v52, vcc, s0, v121
	v_addc_co_u32_e32 v53, vcc, 0, v122, vcc
	global_load_dwordx4 v[28:31], v[0:1], off
	v_add_co_u32_e32 v0, vcc, s14, v0
	v_addc_co_u32_e32 v1, vcc, v1, v64, vcc
	s_movk_i32 s0, 0x3000
	v_add_co_u32_e32 v58, vcc, s0, v121
	v_addc_co_u32_e32 v59, vcc, 0, v122, vcc
	v_add_co_u32_e32 v4, vcc, s14, v0
	v_addc_co_u32_e32 v5, vcc, v1, v64, vcc
	s_movk_i32 s0, 0x4000
	v_add_co_u32_e32 v54, vcc, s0, v121
	v_mad_u64_u32 v[20:21], s[0:1], s8, v26, 0
	v_addc_co_u32_e32 v55, vcc, 0, v122, vcc
	v_mov_b32_e32 v18, v21
	v_add_co_u32_e32 v16, vcc, s14, v4
	v_mad_u64_u32 v[21:22], s[0:1], s9, v26, v[18:19]
	v_addc_co_u32_e32 v17, vcc, v5, v64, vcc
	v_add_co_u32_e32 v60, vcc, s6, v121
	v_addc_co_u32_e32 v61, vcc, 0, v122, vcc
	v_add_co_u32_e32 v24, vcc, s14, v16
	v_lshlrev_b64 v[20:21], 4, v[20:21]
	v_addc_co_u32_e32 v25, vcc, v17, v64, vcc
	v_add_co_u32_e32 v20, vcc, v65, v20
	v_mad_u64_u32 v[32:33], s[0:1], s8, v67, v[24:25]
	v_addc_co_u32_e32 v21, vcc, v66, v21, vcc
	s_movk_i32 s0, 0x7000
	s_mul_hi_u32 s1, s8, 0xfffff8a4
	v_add_co_u32_e32 v62, vcc, s0, v121
	s_mul_i32 s0, s9, 0xfffff8a4
	s_sub_i32 s1, s1, s8
	s_mul_i32 s6, s9, 0x1b00
	s_add_i32 s1, s1, s0
	s_mul_i32 s0, s8, 0xfffff8a4
	global_load_dwordx4 v[95:98], v[56:57], off offset:2816
	global_load_dwordx4 v[103:106], v[58:59], off offset:1536
	;; [unrolled: 1-line block ×4, first 2 shown]
	global_load_dwordx4 v[36:39], v[0:1], off
	global_load_dwordx4 v[115:118], v[60:61], off offset:256
	v_add_u32_e32 v33, s6, v33
	global_load_dwordx4 v[0:3], v[4:5], off
	v_addc_co_u32_e32 v63, vcc, 0, v122, vcc
	global_load_dwordx4 v[4:7], v[16:17], off
	s_nop 0
	global_load_dwordx4 v[16:19], v[24:25], off
	global_load_dwordx4 v[111:114], v[60:61], off offset:3712
	v_lshlrev_b32_e32 v24, 4, v26
	s_lshl_b64 s[0:1], s[0:1], 4
	buffer_store_dword v26, off, s[24:27], 0 offset:176 ; 4-byte Folded Spill
	buffer_store_dword v24, off, s[24:27], 0 offset:896 ; 4-byte Folded Spill
	global_load_dwordx4 v[123:126], v24, s[12:13]
	v_mov_b32_e32 v68, s1
	global_load_dwordx4 v[24:27], v[32:33], off
	v_add_co_u32_e32 v32, vcc, s0, v32
	s_waitcnt vmcnt(18)
	v_mul_f64 v[75:76], v[71:72], v[81:82]
	v_addc_co_u32_e32 v33, vcc, v33, v68, vcc
	global_load_dwordx4 v[20:23], v[20:21], off
	v_mul_f64 v[77:78], v[69:70], v[81:82]
	global_load_dwordx4 v[127:130], v[62:63], off offset:2432
	global_load_dwordx4 v[40:43], v[32:33], off
	global_load_dwordx4 v[131:134], v160, s[12:13] offset:960
	v_add_co_u32_e32 v32, vcc, s14, v32
	v_addc_co_u32_e32 v33, vcc, v33, v64, vcc
	global_load_dwordx4 v[44:47], v[32:33], off
	global_load_dwordx4 v[135:138], v[56:57], off offset:320
	v_add_co_u32_e32 v32, vcc, s14, v32
	v_addc_co_u32_e32 v33, vcc, v33, v64, vcc
	v_add_co_u32_e32 v73, vcc, s14, v32
	v_addc_co_u32_e32 v74, vcc, v33, v64, vcc
	global_load_dwordx4 v[48:51], v[32:33], off
	global_load_dwordx4 v[139:142], v[56:57], off offset:3776
	s_nop 0
	global_load_dwordx4 v[32:35], v[73:74], off
	global_load_dwordx4 v[143:146], v[52:53], off offset:3136
	v_fma_f64 v[69:70], v[69:70], v[79:80], v[75:76]
	buffer_store_dword v79, off, s[24:27], 0 offset:80 ; 4-byte Folded Spill
	s_nop 0
	buffer_store_dword v80, off, s[24:27], 0 offset:84 ; 4-byte Folded Spill
	buffer_store_dword v81, off, s[24:27], 0 offset:88 ; 4-byte Folded Spill
	;; [unrolled: 1-line block ×3, first 2 shown]
	s_waitcnt vmcnt(30)
	v_mul_f64 v[75:76], v[10:11], v[93:94]
	s_waitcnt vmcnt(27)
	v_mul_f64 v[81:82], v[12:13], v[97:98]
	;; [unrolled: 2-line block ×3, first 2 shown]
	v_mul_f64 v[85:86], v[28:29], v[101:102]
	s_waitcnt vmcnt(23)
	v_mul_f64 v[87:88], v[38:39], v[105:106]
	v_mul_f64 v[89:90], v[36:37], v[105:106]
	v_fma_f64 v[28:29], v[28:29], v[99:100], v[83:84]
	v_fma_f64 v[36:37], v[36:37], v[103:104], v[87:88]
	v_fma_f64 v[71:72], v[71:72], v[79:80], -v[77:78]
	v_mul_f64 v[79:80], v[14:15], v[97:98]
	v_mul_f64 v[77:78], v[8:9], v[93:94]
	v_fma_f64 v[8:9], v[8:9], v[91:92], v[75:76]
	buffer_store_dword v91, off, s[24:27], 0 offset:96 ; 4-byte Folded Spill
	s_nop 0
	buffer_store_dword v92, off, s[24:27], 0 offset:100 ; 4-byte Folded Spill
	buffer_store_dword v93, off, s[24:27], 0 offset:104 ; 4-byte Folded Spill
	;; [unrolled: 1-line block ×3, first 2 shown]
	v_fma_f64 v[12:13], v[12:13], v[95:96], v[79:80]
	buffer_store_dword v95, off, s[24:27], 0 offset:112 ; 4-byte Folded Spill
	s_nop 0
	buffer_store_dword v96, off, s[24:27], 0 offset:116 ; 4-byte Folded Spill
	buffer_store_dword v97, off, s[24:27], 0 offset:120 ; 4-byte Folded Spill
	buffer_store_dword v98, off, s[24:27], 0 offset:124 ; 4-byte Folded Spill
	buffer_store_dword v99, off, s[24:27], 0 offset:128 ; 4-byte Folded Spill
	s_nop 0
	buffer_store_dword v100, off, s[24:27], 0 offset:132 ; 4-byte Folded Spill
	buffer_store_dword v101, off, s[24:27], 0 offset:136 ; 4-byte Folded Spill
	buffer_store_dword v102, off, s[24:27], 0 offset:140 ; 4-byte Folded Spill
	;; [unrolled: 5-line block ×3, first 2 shown]
	global_load_dwordx4 v[151:154], v160, s[12:13] offset:1920
	global_load_dwordx4 v[147:150], v[52:53], off offset:640
	global_load_dwordx4 v[165:168], v[58:59], off offset:2496
	v_fma_f64 v[10:11], v[10:11], v[91:92], -v[77:78]
	v_fma_f64 v[14:15], v[14:15], v[95:96], -v[81:82]
	;; [unrolled: 1-line block ×4, first 2 shown]
	ds_write_b128 v160, v[69:72]
	ds_write_b128 v160, v[8:11] offset:3456
	ds_write_b128 v160, v[12:15] offset:6912
	;; [unrolled: 1-line block ×4, first 2 shown]
	s_waitcnt vmcnt(40)
	v_mul_f64 v[8:9], v[2:3], v[109:110]
	s_waitcnt vmcnt(39)
	v_mul_f64 v[12:13], v[6:7], v[117:118]
	;; [unrolled: 2-line block ×4, first 2 shown]
	global_load_dwordx4 v[161:164], v[54:55], off offset:1856
	global_load_dwordx4 v[155:158], v[60:61], off offset:1216
	v_mul_f64 v[10:11], v[0:1], v[109:110]
	v_mul_f64 v[14:15], v[4:5], v[117:118]
	global_load_dwordx4 v[169:172], v[60:61], off offset:2176
	global_load_dwordx4 v[173:176], v[62:63], off offset:896
	v_mul_f64 v[30:31], v[16:17], v[113:114]
	v_mul_f64 v[38:39], v[20:21], v[125:126]
	v_fma_f64 v[8:9], v[0:1], v[107:108], v[8:9]
	buffer_store_dword v107, off, s[24:27], 0 offset:160 ; 4-byte Folded Spill
	s_nop 0
	buffer_store_dword v108, off, s[24:27], 0 offset:164 ; 4-byte Folded Spill
	buffer_store_dword v109, off, s[24:27], 0 offset:168 ; 4-byte Folded Spill
	buffer_store_dword v110, off, s[24:27], 0 offset:172 ; 4-byte Folded Spill
	v_fma_f64 v[12:13], v[4:5], v[115:116], v[12:13]
	buffer_store_dword v115, off, s[24:27], 0 offset:196 ; 4-byte Folded Spill
	s_nop 0
	buffer_store_dword v116, off, s[24:27], 0 offset:200 ; 4-byte Folded Spill
	buffer_store_dword v117, off, s[24:27], 0 offset:204 ; 4-byte Folded Spill
	buffer_store_dword v118, off, s[24:27], 0 offset:208 ; 4-byte Folded Spill
	;; [unrolled: 6-line block ×4, first 2 shown]
	s_waitcnt vmcnt(51)
	v_mul_f64 v[0:1], v[26:27], v[129:130]
	s_waitcnt vmcnt(49)
	v_mul_f64 v[4:5], v[42:43], v[133:134]
	;; [unrolled: 2-line block ×4, first 2 shown]
	global_load_dwordx4 v[177:180], v[62:63], off offset:3392
	v_mul_f64 v[71:72], v[48:49], v[141:142]
	v_or_b32_e32 v99, 0x300, v204
	v_fma_f64 v[28:29], v[40:41], v[131:132], v[4:5]
	v_fma_f64 v[36:37], v[44:45], v[135:136], v[36:37]
	v_fma_f64 v[10:11], v[2:3], v[107:108], -v[10:11]
	v_mul_f64 v[2:3], v[24:25], v[129:130]
	v_fma_f64 v[14:15], v[6:7], v[115:116], -v[14:15]
	v_mul_f64 v[6:7], v[40:41], v[133:134]
	v_fma_f64 v[24:25], v[24:25], v[127:128], v[0:1]
	v_fma_f64 v[40:41], v[48:49], v[139:140], v[69:70]
	v_fma_f64 v[22:23], v[22:23], v[123:124], -v[38:39]
	global_load_dwordx4 v[123:126], v[56:57], off offset:1280
	v_mul_f64 v[38:39], v[44:45], v[137:138]
	buffer_store_dword v127, off, s[24:27], 0 offset:228 ; 4-byte Folded Spill
	s_nop 0
	buffer_store_dword v128, off, s[24:27], 0 offset:232 ; 4-byte Folded Spill
	buffer_store_dword v129, off, s[24:27], 0 offset:236 ; 4-byte Folded Spill
	buffer_store_dword v130, off, s[24:27], 0 offset:240 ; 4-byte Folded Spill
	buffer_store_dword v131, off, s[24:27], 0 offset:244 ; 4-byte Folded Spill
	s_nop 0
	buffer_store_dword v132, off, s[24:27], 0 offset:248 ; 4-byte Folded Spill
	buffer_store_dword v133, off, s[24:27], 0 offset:252 ; 4-byte Folded Spill
	buffer_store_dword v134, off, s[24:27], 0 offset:256 ; 4-byte Folded Spill
	;; [unrolled: 5-line block ×4, first 2 shown]
	v_add_co_u32_e32 v0, vcc, s14, v73
	v_addc_co_u32_e32 v1, vcc, v74, v64, vcc
	v_fma_f64 v[18:19], v[18:19], v[111:112], -v[30:31]
	v_fma_f64 v[26:27], v[26:27], v[127:128], -v[2:3]
	;; [unrolled: 1-line block ×4, first 2 shown]
	global_load_dwordx4 v[44:47], v[0:1], off
	v_add_co_u32_e32 v0, vcc, s14, v0
	v_addc_co_u32_e32 v1, vcc, v1, v64, vcc
	v_fma_f64 v[42:43], v[50:51], v[139:140], -v[71:72]
	global_load_dwordx4 v[48:51], v[0:1], off
	v_add_co_u32_e32 v0, vcc, s14, v0
	v_addc_co_u32_e32 v1, vcc, v1, v64, vcc
	v_add_co_u32_e32 v4, vcc, s14, v0
	v_addc_co_u32_e32 v5, vcc, v1, v64, vcc
	global_load_dwordx4 v[69:72], v[0:1], off
	v_add_co_u32_e32 v0, vcc, s7, v121
	v_addc_co_u32_e32 v1, vcc, 0, v122, vcc
	global_load_dwordx4 v[73:76], v[4:5], off
	v_add_co_u32_e32 v4, vcc, s14, v4
	v_mad_u64_u32 v[6:7], s[10:11], s8, v99, 0
	v_addc_co_u32_e32 v5, vcc, v5, v64, vcc
	global_load_dwordx4 v[185:188], v[0:1], off offset:576
	global_load_dwordx4 v[77:80], v[4:5], off
	global_load_dwordx4 v[181:184], v[0:1], off offset:4032
	v_add_co_u32_e32 v4, vcc, s14, v4
	v_addc_co_u32_e32 v5, vcc, v5, v64, vcc
	global_load_dwordx4 v[81:84], v[4:5], off
	v_add_co_u32_e32 v4, vcc, s0, v4
	v_mad_u64_u32 v[97:98], s[10:11], s9, v99, v[7:8]
	v_addc_co_u32_e32 v5, vcc, v5, v68, vcc
	global_load_dwordx4 v[85:88], v[4:5], off
	v_add_co_u32_e32 v4, vcc, s14, v4
	v_addc_co_u32_e32 v5, vcc, v5, v64, vcc
	global_load_dwordx4 v[89:92], v[4:5], off
	v_add_co_u32_e32 v4, vcc, s14, v4
	v_mov_b32_e32 v7, v97
	v_addc_co_u32_e32 v5, vcc, v5, v64, vcc
	v_lshlrev_b64 v[6:7], 4, v[6:7]
	global_load_dwordx4 v[93:96], v[4:5], off
	v_mad_u64_u32 v[4:5], s[8:9], s8, v67, v[4:5]
	v_add_co_u32_e32 v6, vcc, v65, v6
	v_addc_co_u32_e32 v7, vcc, v66, v7, vcc
	global_load_dwordx4 v[65:68], v[6:7], off
	v_lshlrev_b32_e32 v6, 4, v99
	buffer_store_dword v99, off, s[24:27], 0 offset:436 ; 4-byte Folded Spill
	buffer_store_dword v6, off, s[24:27], 0 offset:964 ; 4-byte Folded Spill
	v_add_u32_e32 v5, s6, v5
	global_load_dwordx4 v[139:142], v6, s[12:13]
	global_load_dwordx4 v[97:100], v[4:5], off
	global_load_dwordx4 v[135:138], v[58:59], off offset:3456
	v_add_co_u32_e32 v4, vcc, s14, v4
	s_waitcnt vmcnt(62)
	v_mul_f64 v[2:3], v[34:35], v[145:146]
	v_addc_co_u32_e32 v5, vcc, v5, v64, vcc
	global_load_dwordx4 v[101:104], v[4:5], off
	global_load_dwordx4 v[131:134], v[54:55], off offset:2816
	v_add_co_u32_e32 v4, vcc, s14, v4
	v_addc_co_u32_e32 v5, vcc, v5, v64, vcc
	global_load_dwordx4 v[105:108], v[4:5], off
	v_add_co_u32_e32 v4, vcc, s14, v4
	v_addc_co_u32_e32 v5, vcc, v5, v64, vcc
	global_load_dwordx4 v[109:112], v[4:5], off
	global_load_dwordx4 v[127:130], v[0:1], off offset:1536
	v_add_co_u32_e32 v4, vcc, s14, v4
	v_addc_co_u32_e32 v5, vcc, v5, v64, vcc
	global_load_dwordx4 v[113:116], v[4:5], off
	v_add_co_u32_e32 v4, vcc, s14, v4
	v_mul_f64 v[6:7], v[32:33], v[145:146]
	v_addc_co_u32_e32 v5, vcc, v5, v64, vcc
	v_fma_f64 v[32:33], v[32:33], v[143:144], v[2:3]
	buffer_store_dword v143, off, s[24:27], 0 offset:292 ; 4-byte Folded Spill
	s_nop 0
	buffer_store_dword v144, off, s[24:27], 0 offset:296 ; 4-byte Folded Spill
	buffer_store_dword v145, off, s[24:27], 0 offset:300 ; 4-byte Folded Spill
	;; [unrolled: 1-line block ×3, first 2 shown]
	s_mov_b32 s6, 0x8000
	global_load_dwordx4 v[117:120], v[4:5], off
	v_add_co_u32_e32 v2, vcc, s6, v121
	buffer_store_dword v121, off, s[24:27], 0 offset:64 ; 4-byte Folded Spill
	s_nop 0
	buffer_store_dword v122, off, s[24:27], 0 offset:68 ; 4-byte Folded Spill
	ds_write_b128 v160, v[8:11] offset:17280
	s_waitcnt vmcnt(28)
	v_mul_f64 v[10:11], v[50:51], v[163:164]
	v_mul_f64 v[8:9], v[44:45], v[167:168]
	v_fma_f64 v[10:11], v[48:49], v[161:162], v[10:11]
	v_fma_f64 v[34:35], v[34:35], v[143:144], -v[6:7]
	v_mul_f64 v[6:7], v[46:47], v[167:168]
	v_addc_co_u32_e32 v3, vcc, 0, v122, vcc
	global_load_dwordx4 v[143:146], v[2:3], off offset:256
	s_load_dwordx2 s[6:7], s[4:5], 0x38
	s_load_dwordx4 s[8:11], s[2:3], 0x0
	ds_write_b128 v160, v[12:15] offset:20736
	ds_write_b128 v160, v[16:19] offset:24192
	;; [unrolled: 1-line block ×8, first 2 shown]
	s_waitcnt vmcnt(28)
	v_mul_f64 v[14:15], v[71:72], v[157:158]
	s_waitcnt vmcnt(26)
	v_mul_f64 v[18:19], v[75:76], v[187:188]
	;; [unrolled: 2-line block ×6, first 2 shown]
	v_fma_f64 v[6:7], v[44:45], v[165:166], v[6:7]
	buffer_store_dword v165, off, s[24:27], 0 offset:372 ; 4-byte Folded Spill
	s_nop 0
	buffer_store_dword v166, off, s[24:27], 0 offset:376 ; 4-byte Folded Spill
	buffer_store_dword v167, off, s[24:27], 0 offset:380 ; 4-byte Folded Spill
	;; [unrolled: 1-line block ×3, first 2 shown]
	v_mul_f64 v[12:13], v[48:49], v[163:164]
	buffer_store_dword v161, off, s[24:27], 0 offset:356 ; 4-byte Folded Spill
	s_nop 0
	buffer_store_dword v162, off, s[24:27], 0 offset:360 ; 4-byte Folded Spill
	buffer_store_dword v163, off, s[24:27], 0 offset:364 ; 4-byte Folded Spill
	buffer_store_dword v164, off, s[24:27], 0 offset:368 ; 4-byte Folded Spill
	v_mul_f64 v[16:17], v[69:70], v[157:158]
	v_fma_f64 v[14:15], v[69:70], v[155:156], v[14:15]
	buffer_store_dword v155, off, s[24:27], 0 offset:340 ; 4-byte Folded Spill
	s_nop 0
	buffer_store_dword v156, off, s[24:27], 0 offset:344 ; 4-byte Folded Spill
	buffer_store_dword v157, off, s[24:27], 0 offset:348 ; 4-byte Folded Spill
	buffer_store_dword v158, off, s[24:27], 0 offset:352 ; 4-byte Folded Spill
	v_mul_f64 v[20:21], v[73:74], v[187:188]
	v_fma_f64 v[18:19], v[73:74], v[185:186], v[18:19]
	;; [unrolled: 7-line block ×6, first 2 shown]
	buffer_store_dword v123, off, s[24:27], 0 offset:420 ; 4-byte Folded Spill
	s_nop 0
	buffer_store_dword v124, off, s[24:27], 0 offset:424 ; 4-byte Folded Spill
	buffer_store_dword v125, off, s[24:27], 0 offset:428 ; 4-byte Folded Spill
	;; [unrolled: 1-line block ×3, first 2 shown]
	v_cmp_gt_u16_e32 vcc, 36, v204
	v_fma_f64 v[8:9], v[46:47], v[165:166], -v[8:9]
	v_fma_f64 v[12:13], v[50:51], v[161:162], -v[12:13]
	;; [unrolled: 1-line block ×8, first 2 shown]
	ds_write_b128 v160, v[6:9] offset:14784
	ds_write_b128 v160, v[10:13] offset:18240
	;; [unrolled: 1-line block ×8, first 2 shown]
	s_waitcnt vmcnt(52)
	v_mul_f64 v[6:7], v[95:96], v[149:150]
	s_waitcnt vmcnt(48)
	v_mul_f64 v[10:11], v[67:68], v[141:142]
	;; [unrolled: 2-line block ×8, first 2 shown]
	v_mul_f64 v[8:9], v[93:94], v[149:150]
	v_fma_f64 v[6:7], v[93:94], v[147:148], v[6:7]
	buffer_store_dword v147, off, s[24:27], 0 offset:308 ; 4-byte Folded Spill
	s_nop 0
	buffer_store_dword v148, off, s[24:27], 0 offset:312 ; 4-byte Folded Spill
	buffer_store_dword v149, off, s[24:27], 0 offset:316 ; 4-byte Folded Spill
	buffer_store_dword v150, off, s[24:27], 0 offset:320 ; 4-byte Folded Spill
	v_mul_f64 v[12:13], v[65:66], v[141:142]
	v_fma_f64 v[10:11], v[65:66], v[139:140], v[10:11]
	buffer_store_dword v139, off, s[24:27], 0 offset:504 ; 4-byte Folded Spill
	s_nop 0
	buffer_store_dword v140, off, s[24:27], 0 offset:508 ; 4-byte Folded Spill
	buffer_store_dword v141, off, s[24:27], 0 offset:512 ; 4-byte Folded Spill
	buffer_store_dword v142, off, s[24:27], 0 offset:516 ; 4-byte Folded Spill
	;; [unrolled: 7-line block ×8, first 2 shown]
	v_fma_f64 v[8:9], v[95:96], v[147:148], -v[8:9]
	v_fma_f64 v[12:13], v[67:68], v[139:140], -v[12:13]
	;; [unrolled: 1-line block ×8, first 2 shown]
	ds_write_b128 v160, v[6:9] offset:8832
	ds_write_b128 v160, v[10:13] offset:12288
	ds_write_b128 v160, v[14:17] offset:15744
	ds_write_b128 v160, v[18:21] offset:19200
	ds_write_b128 v160, v[22:25] offset:22656
	ds_write_b128 v160, v[26:29] offset:26112
	ds_write_b128 v160, v[30:33] offset:29568
	ds_write_b128 v160, v[34:37] offset:33024
	s_and_saveexec_b64 s[2:3], vcc
	s_cbranch_execz .LBB0_3
; %bb.2:
	v_mov_b32_e32 v6, s1
	v_add_co_u32_e64 v8, s[0:1], s0, v4
	v_addc_co_u32_e64 v9, s[0:1], v5, v6, s[0:1]
	v_mov_b32_e32 v77, s15
	v_add_co_u32_e64 v20, s[0:1], s14, v8
	v_addc_co_u32_e64 v21, s[0:1], v9, v77, s[0:1]
	global_load_dwordx4 v[4:7], v[8:9], off
	v_add_co_u32_e64 v24, s[0:1], s14, v20
	global_load_dwordx4 v[8:11], v[20:21], off
	buffer_load_dword v12, off, s[24:27], 0 offset:64 ; 4-byte Folded Reload
	buffer_load_dword v13, off, s[24:27], 0 offset:68 ; 4-byte Folded Reload
	v_addc_co_u32_e64 v25, s[0:1], v21, v77, s[0:1]
	v_add_co_u32_e64 v36, s[0:1], s14, v24
	v_addc_co_u32_e64 v37, s[0:1], v25, v77, s[0:1]
	v_add_co_u32_e64 v40, s[0:1], s14, v36
	v_addc_co_u32_e64 v41, s[0:1], v37, v77, s[0:1]
	s_waitcnt vmcnt(0)
	global_load_dwordx4 v[12:15], v[12:13], off offset:2880
	s_nop 0
	global_load_dwordx4 v[16:19], v[56:57], off offset:2240
	global_load_dwordx4 v[20:23], v[24:25], off
	s_nop 0
	global_load_dwordx4 v[24:27], v[36:37], off
	global_load_dwordx4 v[28:31], v[52:53], off offset:1600
	global_load_dwordx4 v[32:35], v[58:59], off offset:960
	v_add_co_u32_e64 v52, s[0:1], s14, v40
	v_addc_co_u32_e64 v53, s[0:1], v41, v77, s[0:1]
	v_add_co_u32_e64 v64, s[0:1], s14, v52
	v_addc_co_u32_e64 v65, s[0:1], v53, v77, s[0:1]
	global_load_dwordx4 v[36:39], v[40:41], off
	s_nop 0
	global_load_dwordx4 v[40:43], v[52:53], off
	global_load_dwordx4 v[44:47], v[54:55], off offset:320
	global_load_dwordx4 v[48:51], v[54:55], off offset:3776
	s_nop 0
	global_load_dwordx4 v[52:55], v[64:65], off
	global_load_dwordx4 v[56:59], v[60:61], off offset:3136
	v_add_co_u32_e64 v60, s[0:1], s14, v64
	v_addc_co_u32_e64 v61, s[0:1], v65, v77, s[0:1]
	global_load_dwordx4 v[64:67], v[60:61], off
	global_load_dwordx4 v[68:71], v[0:1], off offset:2496
	v_add_co_u32_e64 v0, s[0:1], s14, v60
	v_addc_co_u32_e64 v1, s[0:1], v61, v77, s[0:1]
	v_add_co_u32_e64 v76, s[0:1], s14, v0
	global_load_dwordx4 v[72:75], v[0:1], off
	s_nop 0
	global_load_dwordx4 v[60:63], v[62:63], off offset:1856
	v_addc_co_u32_e64 v77, s[0:1], v1, v77, s[0:1]
	global_load_dwordx4 v[0:3], v[2:3], off offset:1216
	s_nop 0
	global_load_dwordx4 v[76:79], v[76:77], off
	s_waitcnt vmcnt(17)
	v_mul_f64 v[80:81], v[6:7], v[14:15]
	v_mul_f64 v[14:15], v[4:5], v[14:15]
	s_waitcnt vmcnt(16)
	v_mul_f64 v[82:83], v[10:11], v[18:19]
	v_mul_f64 v[18:19], v[8:9], v[18:19]
	;; [unrolled: 3-line block ×4, first 2 shown]
	v_fma_f64 v[4:5], v[4:5], v[12:13], v[80:81]
	v_fma_f64 v[6:7], v[6:7], v[12:13], -v[14:15]
	v_fma_f64 v[8:9], v[8:9], v[16:17], v[82:83]
	v_fma_f64 v[10:11], v[10:11], v[16:17], -v[18:19]
	s_waitcnt vmcnt(9)
	v_mul_f64 v[88:89], v[38:39], v[46:47]
	v_mul_f64 v[46:47], v[36:37], v[46:47]
	s_waitcnt vmcnt(8)
	v_mul_f64 v[90:91], v[42:43], v[50:51]
	v_mul_f64 v[50:51], v[40:41], v[50:51]
	;; [unrolled: 3-line block ×3, first 2 shown]
	v_fma_f64 v[12:13], v[20:21], v[28:29], v[84:85]
	s_waitcnt vmcnt(4)
	v_mul_f64 v[94:95], v[66:67], v[70:71]
	v_mul_f64 v[70:71], v[64:65], v[70:71]
	v_fma_f64 v[14:15], v[22:23], v[28:29], -v[30:31]
	v_fma_f64 v[16:17], v[24:25], v[32:33], v[86:87]
	v_fma_f64 v[18:19], v[26:27], v[32:33], -v[34:35]
	v_fma_f64 v[20:21], v[36:37], v[44:45], v[88:89]
	v_fma_f64 v[22:23], v[38:39], v[44:45], -v[46:47]
	s_waitcnt vmcnt(2)
	v_mul_f64 v[80:81], v[74:75], v[62:63]
	v_mul_f64 v[62:63], v[72:73], v[62:63]
	v_fma_f64 v[24:25], v[40:41], v[48:49], v[90:91]
	s_waitcnt vmcnt(0)
	v_mul_f64 v[82:83], v[78:79], v[2:3]
	v_mul_f64 v[96:97], v[76:77], v[2:3]
	v_fma_f64 v[26:27], v[42:43], v[48:49], -v[50:51]
	v_fma_f64 v[28:29], v[52:53], v[56:57], v[92:93]
	v_fma_f64 v[30:31], v[54:55], v[56:57], -v[58:59]
	v_fma_f64 v[32:33], v[64:65], v[68:69], v[94:95]
	v_fma_f64 v[34:35], v[66:67], v[68:69], -v[70:71]
	ds_write_b128 v160, v[4:7] offset:2880
	ds_write_b128 v160, v[8:11] offset:6336
	v_fma_f64 v[2:3], v[72:73], v[60:61], v[80:81]
	v_fma_f64 v[4:5], v[74:75], v[60:61], -v[62:63]
	v_fma_f64 v[6:7], v[76:77], v[0:1], v[82:83]
	v_fma_f64 v[8:9], v[78:79], v[0:1], -v[96:97]
	ds_write_b128 v160, v[12:15] offset:9792
	ds_write_b128 v160, v[16:19] offset:13248
	ds_write_b128 v160, v[20:23] offset:16704
	ds_write_b128 v160, v[24:27] offset:20160
	ds_write_b128 v160, v[28:31] offset:23616
	ds_write_b128 v160, v[32:35] offset:27072
	ds_write_b128 v160, v[2:5] offset:30528
	ds_write_b128 v160, v[6:9] offset:33984
.LBB0_3:
	s_or_b64 exec, exec, s[2:3]
	s_waitcnt lgkmcnt(0)
	; wave barrier
	s_waitcnt lgkmcnt(0)
	ds_read_b128 v[92:95], v160 offset:3456
	ds_read_b128 v[136:139], v160 offset:4416
	;; [unrolled: 1-line block ×28, first 2 shown]
	ds_read_b128 v[116:119], v160
	ds_read_b128 v[52:55], v160 offset:33024
	s_load_dwordx2 s[4:5], s[4:5], 0x8
                                        ; implicit-def: $vgpr36_vgpr37
                                        ; implicit-def: $vgpr0_vgpr1
                                        ; implicit-def: $vgpr4_vgpr5
                                        ; implicit-def: $vgpr8_vgpr9
                                        ; implicit-def: $vgpr12_vgpr13
                                        ; implicit-def: $vgpr16_vgpr17
                                        ; implicit-def: $vgpr20_vgpr21
                                        ; implicit-def: $vgpr28_vgpr29
                                        ; implicit-def: $vgpr24_vgpr25
                                        ; implicit-def: $vgpr32_vgpr33
	s_and_saveexec_b64 s[0:1], vcc
	s_cbranch_execz .LBB0_5
; %bb.4:
	ds_read_b128 v[0:3], v160 offset:6336
	ds_read_b128 v[4:7], v160 offset:9792
	;; [unrolled: 1-line block ×10, first 2 shown]
.LBB0_5:
	s_or_b64 exec, exec, s[0:1]
	s_waitcnt lgkmcnt(0)
	v_add_f64 v[164:165], v[104:105], v[108:109]
	v_add_f64 v[168:169], v[102:103], -v[114:115]
	s_mov_b32 s2, 0x134454ff
	s_mov_b32 s3, 0x3fee6f0e
	;; [unrolled: 1-line block ×4, first 2 shown]
	v_add_f64 v[170:171], v[106:107], -v[110:111]
	v_add_f64 v[172:173], v[100:101], -v[104:105]
	v_fma_f64 v[166:167], v[164:165], -0.5, v[116:117]
	v_add_f64 v[174:175], v[112:113], -v[108:109]
	v_add_co_u32_e64 v231, s[0:1], 60, v204
	s_movk_i32 s0, 0x78
	v_add_co_u32_e64 v209, s[0:1], s0, v204
	s_movk_i32 s0, 0xb4
	v_fma_f64 v[164:165], v[168:169], s[2:3], v[166:167]
	v_fma_f64 v[166:167], v[168:169], s[18:19], v[166:167]
	v_add_co_u32_e64 v232, s[0:1], s0, v204
	s_mov_b32 s14, 0x4755a5e
	s_mov_b32 s15, 0x3fe2cf23
	;; [unrolled: 1-line block ×4, first 2 shown]
	v_fma_f64 v[164:165], v[170:171], s[14:15], v[164:165]
	v_add_f64 v[172:173], v[172:173], v[174:175]
	v_fma_f64 v[166:167], v[170:171], s[0:1], v[166:167]
	s_mov_b32 s16, 0x372fe950
	s_mov_b32 s17, 0x3fd3c6ef
	v_add_f64 v[161:162], v[116:117], v[100:101]
	v_add_f64 v[174:175], v[104:105], -v[100:101]
	v_add_f64 v[176:177], v[108:109], -v[112:113]
	s_mov_b32 s20, 0x9b97f4a8
	v_fma_f64 v[164:165], v[172:173], s[16:17], v[164:165]
	v_fma_f64 v[166:167], v[172:173], s[16:17], v[166:167]
	v_add_f64 v[172:173], v[100:101], v[112:113]
	v_add_f64 v[100:101], v[100:101], -v[112:113]
	v_add_f64 v[161:162], v[161:162], v[104:105]
	v_add_f64 v[104:105], v[104:105], -v[108:109]
	v_add_f64 v[174:175], v[174:175], v[176:177]
	s_mov_b32 s21, 0x3fe9e377
	v_add_f64 v[196:197], v[34:35], -v[30:31]
	v_add_f64 v[200:201], v[30:31], -v[34:35]
	v_fma_f64 v[116:117], v[172:173], -0.5, v[116:117]
	v_add_f64 v[161:162], v[161:162], v[108:109]
	v_fma_f64 v[172:173], v[170:171], s[18:19], v[116:117]
	v_fma_f64 v[116:117], v[170:171], s[2:3], v[116:117]
	v_add_f64 v[162:163], v[161:162], v[112:113]
	v_fma_f64 v[172:173], v[168:169], s[14:15], v[172:173]
	v_fma_f64 v[116:117], v[168:169], s[0:1], v[116:117]
	;; [unrolled: 1-line block ×4, first 2 shown]
	v_add_f64 v[116:117], v[118:119], v[102:103]
	v_add_f64 v[174:175], v[114:115], -v[110:111]
	v_add_f64 v[116:117], v[116:117], v[106:107]
	v_add_f64 v[116:117], v[116:117], v[110:111]
	;; [unrolled: 1-line block ×4, first 2 shown]
	v_fma_f64 v[116:117], v[116:117], -0.5, v[118:119]
	v_fma_f64 v[112:113], v[100:101], s[18:19], v[116:117]
	v_fma_f64 v[108:109], v[104:105], s[0:1], v[112:113]
	v_add_f64 v[112:113], v[102:103], -v[106:107]
	v_add_f64 v[112:113], v[112:113], v[174:175]
	v_fma_f64 v[174:175], v[112:113], s[16:17], v[108:109]
	v_fma_f64 v[108:109], v[100:101], s[2:3], v[116:117]
	v_add_f64 v[116:117], v[96:97], -v[88:89]
	v_fma_f64 v[108:109], v[104:105], s[14:15], v[108:109]
	v_fma_f64 v[176:177], v[112:113], s[16:17], v[108:109]
	v_add_f64 v[108:109], v[102:103], v[114:115]
	v_add_f64 v[102:103], v[106:107], -v[102:103]
	v_add_f64 v[106:107], v[110:111], -v[114:115]
	;; [unrolled: 1-line block ×3, first 2 shown]
	v_fma_f64 v[108:109], v[108:109], -0.5, v[118:119]
	v_add_f64 v[118:119], v[88:89], -v[96:97]
	v_add_f64 v[102:103], v[102:103], v[106:107]
	v_add_f64 v[114:115], v[114:115], v[116:117]
	v_add_f64 v[116:117], v[84:85], -v[80:81]
	v_fma_f64 v[112:113], v[104:105], s[2:3], v[108:109]
	v_fma_f64 v[104:105], v[104:105], s[18:19], v[108:109]
	v_add_f64 v[108:109], v[82:83], -v[98:99]
	v_add_f64 v[116:117], v[116:117], v[118:119]
	v_fma_f64 v[112:113], v[100:101], s[0:1], v[112:113]
	v_fma_f64 v[100:101], v[100:101], s[14:15], v[104:105]
	v_add_f64 v[104:105], v[84:85], v[88:89]
	v_fma_f64 v[106:107], v[102:103], s[16:17], v[112:113]
	v_add_f64 v[112:113], v[86:87], -v[90:91]
	v_fma_f64 v[104:105], v[104:105], -0.5, v[92:93]
	v_fma_f64 v[102:103], v[102:103], s[16:17], v[100:101]
	v_add_f64 v[100:101], v[92:93], v[80:81]
	v_fma_f64 v[110:111], v[108:109], s[2:3], v[104:105]
	v_fma_f64 v[104:105], v[108:109], s[18:19], v[104:105]
	v_add_f64 v[100:101], v[100:101], v[84:85]
	v_add_f64 v[84:85], v[84:85], -v[88:89]
	v_fma_f64 v[110:111], v[112:113], s[14:15], v[110:111]
	v_fma_f64 v[104:105], v[112:113], s[0:1], v[104:105]
	v_add_f64 v[100:101], v[100:101], v[88:89]
	v_fma_f64 v[110:111], v[114:115], s[16:17], v[110:111]
	v_fma_f64 v[104:105], v[114:115], s[16:17], v[104:105]
	v_add_f64 v[114:115], v[80:81], v[96:97]
	v_add_f64 v[80:81], v[80:81], -v[96:97]
	v_add_f64 v[100:101], v[100:101], v[96:97]
	v_fma_f64 v[92:93], v[114:115], -0.5, v[92:93]
	v_fma_f64 v[114:115], v[112:113], s[18:19], v[92:93]
	v_fma_f64 v[92:93], v[112:113], s[2:3], v[92:93]
	v_add_f64 v[112:113], v[98:99], -v[90:91]
	v_fma_f64 v[114:115], v[108:109], s[14:15], v[114:115]
	v_fma_f64 v[92:93], v[108:109], s[0:1], v[92:93]
	;; [unrolled: 1-line block ×4, first 2 shown]
	v_add_f64 v[92:93], v[94:95], v[82:83]
	v_add_f64 v[92:93], v[92:93], v[86:87]
	;; [unrolled: 1-line block ×5, first 2 shown]
	v_fma_f64 v[92:93], v[92:93], -0.5, v[94:95]
	v_fma_f64 v[96:97], v[80:81], s[18:19], v[92:93]
	v_fma_f64 v[88:89], v[84:85], s[0:1], v[96:97]
	v_add_f64 v[96:97], v[82:83], -v[86:87]
	v_add_f64 v[96:97], v[96:97], v[112:113]
	v_fma_f64 v[112:113], v[96:97], s[16:17], v[88:89]
	v_fma_f64 v[88:89], v[80:81], s[2:3], v[92:93]
	;; [unrolled: 1-line block ×4, first 2 shown]
	v_add_f64 v[88:89], v[82:83], v[98:99]
	v_add_f64 v[82:83], v[86:87], -v[82:83]
	v_add_f64 v[86:87], v[90:91], -v[98:99]
	v_mul_f64 v[98:99], v[114:115], s[18:19]
	v_fma_f64 v[88:89], v[88:89], -0.5, v[94:95]
	v_add_f64 v[82:83], v[82:83], v[86:87]
	v_mul_f64 v[86:87], v[110:111], s[0:1]
	v_fma_f64 v[92:93], v[84:85], s[2:3], v[88:89]
	v_fma_f64 v[84:85], v[84:85], s[18:19], v[88:89]
	;; [unrolled: 1-line block ×6, first 2 shown]
	v_mul_f64 v[82:83], v[110:111], s[20:21]
	v_fma_f64 v[110:111], v[112:113], s[20:21], v[86:87]
	v_add_f64 v[80:81], v[162:163], v[100:101]
	v_fma_f64 v[186:187], v[90:91], s[16:17], v[98:99]
	v_mul_f64 v[98:99], v[116:117], s[20:21]
	v_fma_f64 v[178:179], v[112:113], s[14:15], v[82:83]
	v_mul_f64 v[82:83], v[90:91], s[2:3]
	v_add_f64 v[86:87], v[174:175], v[110:111]
	v_add_f64 v[90:91], v[106:107], v[186:187]
	v_fma_f64 v[190:191], v[104:105], s[0:1], -v[98:99]
	v_add_f64 v[84:85], v[164:165], v[178:179]
	v_fma_f64 v[180:181], v[114:115], s[16:17], v[82:83]
	v_mul_f64 v[82:83], v[108:109], s[16:17]
	v_add_f64 v[112:113], v[164:165], -v[178:179]
	v_add_f64 v[164:165], v[148:149], v[152:153]
	v_add_f64 v[114:115], v[174:175], -v[110:111]
	v_add_f64 v[174:175], v[156:157], -v[152:153]
	v_add_f64 v[98:99], v[176:177], v[190:191]
	v_add_f64 v[110:111], v[106:107], -v[186:187]
	v_add_f64 v[88:89], v[172:173], v[180:181]
	v_fma_f64 v[182:183], v[94:95], s[2:3], -v[82:83]
	v_mul_f64 v[82:83], v[104:105], s[20:21]
	v_mul_f64 v[94:95], v[94:95], s[16:17]
	v_add_f64 v[92:93], v[168:169], v[182:183]
	v_fma_f64 v[184:185], v[116:117], s[14:15], -v[82:83]
	v_add_f64 v[116:117], v[162:163], -v[100:101]
	v_add_f64 v[104:105], v[168:169], -v[182:183]
	;; [unrolled: 1-line block ×3, first 2 shown]
	v_add_f64 v[82:83], v[170:171], v[118:119]
	v_fma_f64 v[188:189], v[108:109], s[18:19], -v[94:95]
	v_add_f64 v[108:109], v[172:173], -v[180:181]
	v_add_f64 v[118:119], v[170:171], -v[118:119]
	v_add_f64 v[96:97], v[166:167], v[184:185]
	v_add_f64 v[100:101], v[166:167], -v[184:185]
	v_fma_f64 v[166:167], v[164:165], -0.5, v[140:141]
	v_add_f64 v[170:171], v[150:151], -v[154:155]
	v_add_f64 v[172:173], v[144:145], -v[148:149]
	v_add_f64 v[161:162], v[140:141], v[144:145]
	v_add_f64 v[94:95], v[102:103], v[188:189]
	v_add_f64 v[106:107], v[102:103], -v[188:189]
	v_add_f64 v[102:103], v[176:177], -v[190:191]
	;; [unrolled: 1-line block ×3, first 2 shown]
	v_fma_f64 v[164:165], v[168:169], s[2:3], v[166:167]
	v_fma_f64 v[166:167], v[168:169], s[18:19], v[166:167]
	v_add_f64 v[172:173], v[172:173], v[174:175]
	v_add_f64 v[161:162], v[161:162], v[148:149]
	v_add_f64 v[174:175], v[148:149], -v[144:145]
	v_add_f64 v[148:149], v[148:149], -v[152:153]
	v_fma_f64 v[164:165], v[170:171], s[14:15], v[164:165]
	v_fma_f64 v[166:167], v[170:171], s[0:1], v[166:167]
	v_add_f64 v[161:162], v[161:162], v[152:153]
	v_add_f64 v[174:175], v[174:175], v[176:177]
	v_add_f64 v[176:177], v[128:129], -v[132:133]
	v_fma_f64 v[164:165], v[172:173], s[16:17], v[164:165]
	v_fma_f64 v[166:167], v[172:173], s[16:17], v[166:167]
	v_add_f64 v[172:173], v[144:145], v[156:157]
	v_add_f64 v[144:145], v[144:145], -v[156:157]
	v_add_f64 v[162:163], v[161:162], v[156:157]
	v_fma_f64 v[140:141], v[172:173], -0.5, v[140:141]
	v_fma_f64 v[172:173], v[170:171], s[18:19], v[140:141]
	v_fma_f64 v[140:141], v[170:171], s[2:3], v[140:141]
	v_add_f64 v[170:171], v[150:151], v[154:155]
	v_fma_f64 v[172:173], v[168:169], s[14:15], v[172:173]
	v_fma_f64 v[140:141], v[168:169], s[0:1], v[140:141]
	v_fma_f64 v[170:171], v[170:171], -0.5, v[142:143]
	v_add_f64 v[168:169], v[142:143], v[146:147]
	v_fma_f64 v[172:173], v[174:175], s[16:17], v[172:173]
	v_fma_f64 v[140:141], v[174:175], s[16:17], v[140:141]
	;; [unrolled: 1-line block ×3, first 2 shown]
	v_add_f64 v[174:175], v[158:159], -v[154:155]
	v_add_f64 v[168:169], v[168:169], v[150:151]
	v_fma_f64 v[152:153], v[148:149], s[0:1], v[156:157]
	v_add_f64 v[156:157], v[146:147], -v[150:151]
	v_add_f64 v[168:169], v[168:169], v[154:155]
	v_add_f64 v[156:157], v[156:157], v[174:175]
	;; [unrolled: 1-line block ×3, first 2 shown]
	v_fma_f64 v[174:175], v[156:157], s[16:17], v[152:153]
	v_fma_f64 v[152:153], v[144:145], s[2:3], v[170:171]
	;; [unrolled: 1-line block ×4, first 2 shown]
	v_add_f64 v[152:153], v[146:147], v[158:159]
	v_add_f64 v[146:147], v[150:151], -v[146:147]
	v_add_f64 v[150:151], v[154:155], -v[158:159]
	;; [unrolled: 1-line block ×5, first 2 shown]
	v_fma_f64 v[142:143], v[152:153], -0.5, v[142:143]
	v_add_f64 v[146:147], v[146:147], v[150:151]
	v_add_f64 v[156:157], v[156:157], v[158:159]
	v_add_f64 v[158:159], v[124:125], -v[120:121]
	v_fma_f64 v[152:153], v[148:149], s[2:3], v[142:143]
	v_fma_f64 v[142:143], v[148:149], s[18:19], v[142:143]
	v_add_f64 v[148:149], v[122:123], -v[134:135]
	v_add_f64 v[158:159], v[158:159], v[176:177]
	v_fma_f64 v[152:153], v[144:145], s[0:1], v[152:153]
	v_fma_f64 v[142:143], v[144:145], s[14:15], v[142:143]
	v_add_f64 v[144:145], v[136:137], v[120:121]
	v_fma_f64 v[150:151], v[146:147], s[16:17], v[152:153]
	v_fma_f64 v[142:143], v[146:147], s[16:17], v[142:143]
	v_add_f64 v[146:147], v[124:125], v[128:129]
	v_add_f64 v[144:145], v[144:145], v[124:125]
	v_add_f64 v[124:125], v[124:125], -v[128:129]
	v_fma_f64 v[146:147], v[146:147], -0.5, v[136:137]
	v_add_f64 v[144:145], v[144:145], v[128:129]
	v_fma_f64 v[152:153], v[148:149], s[2:3], v[146:147]
	v_fma_f64 v[146:147], v[148:149], s[18:19], v[146:147]
	v_add_f64 v[144:145], v[144:145], v[132:133]
	v_fma_f64 v[152:153], v[154:155], s[14:15], v[152:153]
	v_fma_f64 v[146:147], v[154:155], s[0:1], v[146:147]
	v_fma_f64 v[152:153], v[156:157], s[16:17], v[152:153]
	v_fma_f64 v[146:147], v[156:157], s[16:17], v[146:147]
	v_add_f64 v[156:157], v[120:121], v[132:133]
	v_add_f64 v[120:121], v[120:121], -v[132:133]
	v_fma_f64 v[136:137], v[156:157], -0.5, v[136:137]
	v_fma_f64 v[156:157], v[154:155], s[18:19], v[136:137]
	v_fma_f64 v[136:137], v[154:155], s[2:3], v[136:137]
	;; [unrolled: 1-line block ×6, first 2 shown]
	v_add_f64 v[136:137], v[138:139], v[122:123]
	v_add_f64 v[158:159], v[134:135], -v[130:131]
	v_add_f64 v[136:137], v[136:137], v[126:127]
	v_add_f64 v[136:137], v[136:137], v[130:131]
	;; [unrolled: 1-line block ×4, first 2 shown]
	v_fma_f64 v[136:137], v[136:137], -0.5, v[138:139]
	v_fma_f64 v[132:133], v[120:121], s[18:19], v[136:137]
	v_fma_f64 v[128:129], v[124:125], s[0:1], v[132:133]
	v_add_f64 v[132:133], v[122:123], -v[126:127]
	v_add_f64 v[132:133], v[132:133], v[158:159]
	v_fma_f64 v[158:159], v[132:133], s[16:17], v[128:129]
	v_fma_f64 v[128:129], v[120:121], s[2:3], v[136:137]
	;; [unrolled: 1-line block ×4, first 2 shown]
	v_add_f64 v[128:129], v[122:123], v[134:135]
	v_add_f64 v[122:123], v[126:127], -v[122:123]
	v_add_f64 v[126:127], v[130:131], -v[134:135]
	v_fma_f64 v[128:129], v[128:129], -0.5, v[138:139]
	v_mul_f64 v[138:139], v[156:157], s[18:19]
	v_add_f64 v[122:123], v[122:123], v[126:127]
	v_mul_f64 v[126:127], v[152:153], s[0:1]
	v_fma_f64 v[132:133], v[124:125], s[2:3], v[128:129]
	v_fma_f64 v[124:125], v[124:125], s[18:19], v[128:129]
	;; [unrolled: 1-line block ×5, first 2 shown]
	v_add_f64 v[126:127], v[174:175], v[186:187]
	v_fma_f64 v[130:131], v[122:123], s[16:17], v[132:133]
	v_fma_f64 v[134:135], v[122:123], s[16:17], v[120:121]
	v_mul_f64 v[122:123], v[152:153], s[20:21]
	v_add_f64 v[120:121], v[162:163], v[144:145]
	v_fma_f64 v[188:189], v[130:131], s[16:17], v[138:139]
	v_mul_f64 v[138:139], v[176:177], s[20:21]
	v_fma_f64 v[178:179], v[158:159], s[14:15], v[122:123]
	v_mul_f64 v[122:123], v[130:131], s[2:3]
	v_add_f64 v[158:159], v[168:169], -v[154:155]
	v_add_f64 v[130:131], v[150:151], v[188:189]
	v_add_f64 v[150:151], v[150:151], -v[188:189]
	v_add_f64 v[124:125], v[164:165], v[178:179]
	v_fma_f64 v[180:181], v[156:157], s[16:17], v[122:123]
	v_mul_f64 v[122:123], v[148:149], s[16:17]
	v_add_f64 v[152:153], v[164:165], -v[178:179]
	v_add_f64 v[164:165], v[68:69], v[72:73]
	v_add_f64 v[156:157], v[162:163], -v[144:145]
	v_add_f64 v[161:162], v[60:61], v[64:65]
	v_add_f64 v[128:129], v[172:173], v[180:181]
	v_fma_f64 v[182:183], v[134:135], s[2:3], -v[122:123]
	v_mul_f64 v[122:123], v[146:147], s[20:21]
	v_mul_f64 v[134:135], v[134:135], s[16:17]
	v_add_f64 v[161:162], v[161:162], v[68:69]
	v_add_f64 v[132:133], v[140:141], v[182:183]
	v_fma_f64 v[184:185], v[176:177], s[14:15], -v[122:123]
	v_add_f64 v[122:123], v[168:169], v[154:155]
	v_fma_f64 v[190:191], v[148:149], s[18:19], -v[134:135]
	v_fma_f64 v[176:177], v[146:147], s[0:1], -v[138:139]
	v_add_f64 v[144:145], v[140:141], -v[182:183]
	v_add_f64 v[168:169], v[66:67], -v[78:79]
	;; [unrolled: 1-line block ×4, first 2 shown]
	v_add_f64 v[136:137], v[166:167], v[184:185]
	v_add_f64 v[140:141], v[166:167], -v[184:185]
	v_fma_f64 v[166:167], v[164:165], -0.5, v[60:61]
	v_add_f64 v[134:135], v[142:143], v[190:191]
	v_add_f64 v[138:139], v[170:171], v[176:177]
	v_add_f64 v[146:147], v[142:143], -v[190:191]
	v_add_f64 v[142:143], v[170:171], -v[176:177]
	v_add_f64 v[170:171], v[70:71], -v[74:75]
	v_add_f64 v[172:173], v[64:65], -v[68:69]
	v_add_f64 v[174:175], v[76:77], -v[72:73]
	v_fma_f64 v[164:165], v[168:169], s[2:3], v[166:167]
	v_fma_f64 v[166:167], v[168:169], s[18:19], v[166:167]
	v_add_f64 v[161:162], v[161:162], v[72:73]
	v_add_f64 v[176:177], v[72:73], -v[76:77]
	v_add_f64 v[172:173], v[172:173], v[174:175]
	v_fma_f64 v[164:165], v[170:171], s[14:15], v[164:165]
	v_fma_f64 v[166:167], v[170:171], s[0:1], v[166:167]
	v_add_f64 v[174:175], v[68:69], -v[64:65]
	v_add_f64 v[162:163], v[161:162], v[76:77]
	v_add_f64 v[68:69], v[68:69], -v[72:73]
	v_fma_f64 v[164:165], v[172:173], s[16:17], v[164:165]
	v_fma_f64 v[166:167], v[172:173], s[16:17], v[166:167]
	v_add_f64 v[172:173], v[64:65], v[76:77]
	v_add_f64 v[64:65], v[64:65], -v[76:77]
	v_add_f64 v[174:175], v[174:175], v[176:177]
	v_add_f64 v[176:177], v[48:49], -v[52:53]
	v_fma_f64 v[60:61], v[172:173], -0.5, v[60:61]
	v_fma_f64 v[172:173], v[170:171], s[18:19], v[60:61]
	v_fma_f64 v[60:61], v[170:171], s[2:3], v[60:61]
	v_add_f64 v[170:171], v[70:71], v[74:75]
	v_fma_f64 v[172:173], v[168:169], s[14:15], v[172:173]
	v_fma_f64 v[60:61], v[168:169], s[0:1], v[60:61]
	v_fma_f64 v[170:171], v[170:171], -0.5, v[62:63]
	v_add_f64 v[168:169], v[62:63], v[66:67]
	v_fma_f64 v[172:173], v[174:175], s[16:17], v[172:173]
	v_fma_f64 v[60:61], v[174:175], s[16:17], v[60:61]
	;; [unrolled: 1-line block ×3, first 2 shown]
	v_add_f64 v[174:175], v[78:79], -v[74:75]
	v_add_f64 v[168:169], v[168:169], v[70:71]
	v_fma_f64 v[72:73], v[68:69], s[0:1], v[76:77]
	v_add_f64 v[76:77], v[66:67], -v[70:71]
	v_add_f64 v[168:169], v[168:169], v[74:75]
	v_add_f64 v[76:77], v[76:77], v[174:175]
	;; [unrolled: 1-line block ×3, first 2 shown]
	v_fma_f64 v[174:175], v[76:77], s[16:17], v[72:73]
	v_fma_f64 v[72:73], v[64:65], s[2:3], v[170:171]
	;; [unrolled: 1-line block ×4, first 2 shown]
	v_add_f64 v[72:73], v[66:67], v[78:79]
	v_add_f64 v[66:67], v[70:71], -v[66:67]
	v_add_f64 v[70:71], v[74:75], -v[78:79]
	;; [unrolled: 1-line block ×5, first 2 shown]
	v_fma_f64 v[62:63], v[72:73], -0.5, v[62:63]
	v_add_f64 v[66:67], v[66:67], v[70:71]
	v_add_f64 v[76:77], v[76:77], v[78:79]
	v_add_f64 v[78:79], v[44:45], -v[40:41]
	v_fma_f64 v[72:73], v[68:69], s[2:3], v[62:63]
	v_fma_f64 v[62:63], v[68:69], s[18:19], v[62:63]
	v_add_f64 v[68:69], v[42:43], -v[54:55]
	v_add_f64 v[78:79], v[78:79], v[176:177]
	v_fma_f64 v[72:73], v[64:65], s[0:1], v[72:73]
	v_fma_f64 v[62:63], v[64:65], s[14:15], v[62:63]
	v_add_f64 v[64:65], v[56:57], v[40:41]
	v_fma_f64 v[70:71], v[66:67], s[16:17], v[72:73]
	v_fma_f64 v[62:63], v[66:67], s[16:17], v[62:63]
	v_add_f64 v[66:67], v[44:45], v[48:49]
	v_add_f64 v[64:65], v[64:65], v[44:45]
	v_add_f64 v[44:45], v[44:45], -v[48:49]
	v_fma_f64 v[66:67], v[66:67], -0.5, v[56:57]
	v_add_f64 v[64:65], v[64:65], v[48:49]
	v_fma_f64 v[72:73], v[68:69], s[2:3], v[66:67]
	v_fma_f64 v[66:67], v[68:69], s[18:19], v[66:67]
	v_add_f64 v[64:65], v[64:65], v[52:53]
	v_fma_f64 v[72:73], v[74:75], s[14:15], v[72:73]
	v_fma_f64 v[66:67], v[74:75], s[0:1], v[66:67]
	;; [unrolled: 1-line block ×4, first 2 shown]
	v_add_f64 v[76:77], v[40:41], v[52:53]
	v_add_f64 v[40:41], v[40:41], -v[52:53]
	v_fma_f64 v[56:57], v[76:77], -0.5, v[56:57]
	v_fma_f64 v[76:77], v[74:75], s[18:19], v[56:57]
	v_fma_f64 v[56:57], v[74:75], s[2:3], v[56:57]
	;; [unrolled: 1-line block ×6, first 2 shown]
	v_add_f64 v[56:57], v[58:59], v[42:43]
	v_add_f64 v[78:79], v[54:55], -v[50:51]
	v_add_f64 v[56:57], v[56:57], v[46:47]
	v_add_f64 v[56:57], v[56:57], v[50:51]
	;; [unrolled: 1-line block ×4, first 2 shown]
	v_fma_f64 v[56:57], v[56:57], -0.5, v[58:59]
	v_fma_f64 v[52:53], v[40:41], s[18:19], v[56:57]
	v_fma_f64 v[48:49], v[44:45], s[0:1], v[52:53]
	v_add_f64 v[52:53], v[42:43], -v[46:47]
	v_add_f64 v[52:53], v[52:53], v[78:79]
	v_fma_f64 v[78:79], v[52:53], s[16:17], v[48:49]
	v_fma_f64 v[48:49], v[40:41], s[2:3], v[56:57]
	;; [unrolled: 1-line block ×4, first 2 shown]
	v_add_f64 v[48:49], v[42:43], v[54:55]
	v_add_f64 v[42:43], v[46:47], -v[42:43]
	v_add_f64 v[46:47], v[50:51], -v[54:55]
	v_fma_f64 v[48:49], v[48:49], -0.5, v[58:59]
	v_mul_f64 v[58:59], v[76:77], s[18:19]
	v_add_f64 v[42:43], v[42:43], v[46:47]
	v_mul_f64 v[46:47], v[72:73], s[0:1]
	v_fma_f64 v[52:53], v[44:45], s[2:3], v[48:49]
	v_fma_f64 v[44:45], v[44:45], s[18:19], v[48:49]
	;; [unrolled: 1-line block ×5, first 2 shown]
	v_add_f64 v[46:47], v[174:175], v[186:187]
	v_fma_f64 v[50:51], v[42:43], s[16:17], v[52:53]
	v_fma_f64 v[54:55], v[42:43], s[16:17], v[40:41]
	v_mul_f64 v[42:43], v[72:73], s[20:21]
	v_add_f64 v[40:41], v[162:163], v[64:65]
	v_fma_f64 v[188:189], v[50:51], s[16:17], v[58:59]
	v_mul_f64 v[58:59], v[176:177], s[20:21]
	v_fma_f64 v[178:179], v[78:79], s[14:15], v[42:43]
	v_mul_f64 v[42:43], v[50:51], s[2:3]
	v_add_f64 v[78:79], v[168:169], -v[74:75]
	v_add_f64 v[50:51], v[70:71], v[188:189]
	v_add_f64 v[70:71], v[70:71], -v[188:189]
	v_add_f64 v[44:45], v[164:165], v[178:179]
	v_fma_f64 v[180:181], v[76:77], s[16:17], v[42:43]
	v_mul_f64 v[42:43], v[68:69], s[16:17]
	v_add_f64 v[76:77], v[162:163], -v[64:65]
	v_add_f64 v[161:162], v[12:13], v[20:21]
	v_add_f64 v[72:73], v[164:165], -v[178:179]
	v_add_f64 v[178:179], v[12:13], -v[20:21]
	;; [unrolled: 1-line block ×3, first 2 shown]
	v_add_f64 v[48:49], v[172:173], v[180:181]
	v_fma_f64 v[182:183], v[54:55], s[2:3], -v[42:43]
	v_mul_f64 v[42:43], v[66:67], s[20:21]
	v_mul_f64 v[54:55], v[54:55], s[16:17]
	v_fma_f64 v[164:165], v[161:162], -0.5, v[36:37]
	v_add_f64 v[52:53], v[60:61], v[182:183]
	v_fma_f64 v[184:185], v[176:177], s[14:15], -v[42:43]
	v_add_f64 v[42:43], v[168:169], v[74:75]
	v_fma_f64 v[190:191], v[68:69], s[18:19], -v[54:55]
	v_fma_f64 v[176:177], v[66:67], s[0:1], -v[58:59]
	v_add_f64 v[168:169], v[6:7], -v[26:27]
	v_add_f64 v[68:69], v[172:173], -v[180:181]
	;; [unrolled: 1-line block ×4, first 2 shown]
	v_add_f64 v[56:57], v[166:167], v[184:185]
	v_add_f64 v[60:61], v[166:167], -v[184:185]
	v_add_f64 v[54:55], v[62:63], v[190:191]
	v_add_f64 v[58:59], v[170:171], v[176:177]
	v_add_f64 v[66:67], v[62:63], -v[190:191]
	v_add_f64 v[62:63], v[170:171], -v[176:177]
	v_fma_f64 v[161:162], v[168:169], s[2:3], v[164:165]
	v_add_f64 v[170:171], v[14:15], -v[22:23]
	v_add_f64 v[166:167], v[4:5], -v[12:13]
	v_fma_f64 v[164:165], v[168:169], s[18:19], v[164:165]
	v_add_f64 v[74:75], v[174:175], -v[186:187]
	v_add_f64 v[174:175], v[12:13], -v[4:5]
	;; [unrolled: 1-line block ×5, first 2 shown]
	v_fma_f64 v[161:162], v[170:171], s[14:15], v[161:162]
	v_add_f64 v[166:167], v[166:167], v[172:173]
	v_fma_f64 v[164:165], v[170:171], s[0:1], v[164:165]
	v_add_f64 v[184:185], v[22:23], -v[26:27]
	v_add_f64 v[186:187], v[8:9], -v[16:17]
	v_add_f64 v[174:175], v[174:175], v[176:177]
	v_add_f64 v[176:177], v[4:5], -v[24:25]
	v_add_f64 v[190:191], v[28:29], -v[32:33]
	v_fma_f64 v[162:163], v[166:167], s[16:17], v[161:162]
	v_fma_f64 v[164:165], v[166:167], s[16:17], v[164:165]
	v_add_f64 v[166:167], v[4:5], v[24:25]
	v_add_f64 v[182:183], v[182:183], v[184:185]
	v_add_f64 v[184:185], v[18:19], -v[30:31]
	v_add_f64 v[186:187], v[186:187], v[188:189]
	v_mul_lo_u16_e32 v161, 10, v204
	v_lshlrev_b32_e32 v161, 4, v161
	v_fma_f64 v[172:173], v[166:167], -0.5, v[36:37]
	v_fma_f64 v[166:167], v[170:171], s[18:19], v[172:173]
	v_fma_f64 v[170:171], v[170:171], s[2:3], v[172:173]
	;; [unrolled: 1-line block ×4, first 2 shown]
	v_add_f64 v[170:171], v[14:15], v[22:23]
	v_fma_f64 v[166:167], v[174:175], s[16:17], v[166:167]
	v_fma_f64 v[168:169], v[174:175], s[16:17], v[168:169]
	v_fma_f64 v[172:173], v[170:171], -0.5, v[38:39]
	v_add_f64 v[174:175], v[6:7], -v[14:15]
	v_fma_f64 v[170:171], v[176:177], s[18:19], v[172:173]
	v_fma_f64 v[172:173], v[176:177], s[2:3], v[172:173]
	v_add_f64 v[174:175], v[174:175], v[180:181]
	v_fma_f64 v[170:171], v[178:179], s[0:1], v[170:171]
	v_fma_f64 v[172:173], v[178:179], s[14:15], v[172:173]
	;; [unrolled: 1-line block ×4, first 2 shown]
	v_add_f64 v[174:175], v[6:7], v[26:27]
	v_fma_f64 v[180:181], v[174:175], -0.5, v[38:39]
	v_fma_f64 v[174:175], v[178:179], s[2:3], v[180:181]
	v_fma_f64 v[178:179], v[178:179], s[18:19], v[180:181]
	v_add_f64 v[180:181], v[10:11], -v[34:35]
	v_fma_f64 v[174:175], v[176:177], s[0:1], v[174:175]
	v_fma_f64 v[176:177], v[176:177], s[14:15], v[178:179]
	v_add_f64 v[178:179], v[16:17], v[28:29]
	v_fma_f64 v[174:175], v[182:183], s[16:17], v[174:175]
	v_fma_f64 v[176:177], v[182:183], s[16:17], v[176:177]
	v_fma_f64 v[178:179], v[178:179], -0.5, v[0:1]
	v_fma_f64 v[182:183], v[180:181], s[2:3], v[178:179]
	v_fma_f64 v[178:179], v[180:181], s[18:19], v[178:179]
	v_fma_f64 v[182:183], v[184:185], s[14:15], v[182:183]
	v_fma_f64 v[178:179], v[184:185], s[0:1], v[178:179]
	v_fma_f64 v[188:189], v[186:187], s[16:17], v[182:183]
	v_fma_f64 v[192:193], v[186:187], s[16:17], v[178:179]
	v_add_f64 v[178:179], v[8:9], v[32:33]
	v_add_f64 v[186:187], v[16:17], -v[8:9]
	v_fma_f64 v[178:179], v[178:179], -0.5, v[0:1]
	v_add_f64 v[186:187], v[186:187], v[190:191]
	v_fma_f64 v[182:183], v[184:185], s[18:19], v[178:179]
	v_fma_f64 v[178:179], v[184:185], s[2:3], v[178:179]
	v_add_f64 v[184:185], v[16:17], -v[28:29]
	v_fma_f64 v[182:183], v[180:181], s[14:15], v[182:183]
	v_fma_f64 v[178:179], v[180:181], s[0:1], v[178:179]
	v_add_f64 v[180:181], v[8:9], -v[32:33]
	v_fma_f64 v[190:191], v[186:187], s[16:17], v[182:183]
	v_fma_f64 v[194:195], v[186:187], s[16:17], v[178:179]
	v_add_f64 v[178:179], v[18:19], v[30:31]
	v_add_f64 v[186:187], v[10:11], -v[18:19]
	v_fma_f64 v[178:179], v[178:179], -0.5, v[2:3]
	v_add_f64 v[186:187], v[186:187], v[196:197]
	v_fma_f64 v[182:183], v[180:181], s[18:19], v[178:179]
	v_fma_f64 v[178:179], v[180:181], s[2:3], v[178:179]
	v_fma_f64 v[182:183], v[184:185], s[0:1], v[182:183]
	v_fma_f64 v[178:179], v[184:185], s[14:15], v[178:179]
	v_fma_f64 v[196:197], v[186:187], s[16:17], v[182:183]
	v_fma_f64 v[198:199], v[186:187], s[16:17], v[178:179]
	v_add_f64 v[178:179], v[10:11], v[34:35]
	v_add_f64 v[186:187], v[18:19], -v[10:11]
	v_fma_f64 v[178:179], v[178:179], -0.5, v[2:3]
	v_add_f64 v[186:187], v[186:187], v[200:201]
	v_fma_f64 v[182:183], v[184:185], s[2:3], v[178:179]
	v_fma_f64 v[178:179], v[184:185], s[18:19], v[178:179]
	v_mul_f64 v[184:185], v[192:193], s[20:21]
	v_fma_f64 v[182:183], v[180:181], s[0:1], v[182:183]
	v_fma_f64 v[178:179], v[180:181], s[14:15], v[178:179]
	v_fma_f64 v[184:185], v[198:199], s[14:15], -v[184:185]
	v_fma_f64 v[200:201], v[186:187], s[16:17], v[182:183]
	v_fma_f64 v[202:203], v[186:187], s[16:17], v[178:179]
	v_mul_f64 v[178:179], v[188:189], s[20:21]
	v_mul_f64 v[186:187], v[188:189], s[0:1]
	;; [unrolled: 1-line block ×4, first 2 shown]
	v_add_f64 v[210:211], v[164:165], -v[184:185]
	v_mul_f64 v[180:181], v[200:201], s[2:3]
	v_fma_f64 v[178:179], v[196:197], s[14:15], v[178:179]
	v_fma_f64 v[186:187], v[196:197], s[20:21], v[186:187]
	;; [unrolled: 1-line block ×3, first 2 shown]
	v_fma_f64 v[182:183], v[202:203], s[2:3], -v[182:183]
	v_fma_f64 v[180:181], v[190:191], s[16:17], v[180:181]
	v_mul_f64 v[190:191], v[202:203], s[16:17]
	v_add_f64 v[196:197], v[170:171], -v[186:187]
	v_add_f64 v[200:201], v[174:175], -v[188:189]
	;; [unrolled: 1-line block ×3, first 2 shown]
	v_fma_f64 v[190:191], v[194:195], s[18:19], -v[190:191]
	v_mul_f64 v[194:195], v[198:199], s[20:21]
	v_add_f64 v[198:199], v[166:167], -v[180:181]
	v_add_f64 v[207:208], v[176:177], -v[190:191]
	v_fma_f64 v[192:193], v[192:193], s[0:1], -v[194:195]
	v_add_f64 v[194:195], v[162:163], -v[178:179]
	buffer_store_dword v194, off, s[24:27], 0 ; 4-byte Folded Spill
	s_nop 0
	buffer_store_dword v195, off, s[24:27], 0 offset:4 ; 4-byte Folded Spill
	buffer_store_dword v196, off, s[24:27], 0 offset:8 ; 4-byte Folded Spill
	;; [unrolled: 1-line block ×3, first 2 shown]
	v_add_f64 v[212:213], v[172:173], -v[192:193]
	buffer_store_dword v198, off, s[24:27], 0 offset:16 ; 4-byte Folded Spill
	s_nop 0
	buffer_store_dword v199, off, s[24:27], 0 offset:20 ; 4-byte Folded Spill
	buffer_store_dword v200, off, s[24:27], 0 offset:24 ; 4-byte Folded Spill
	buffer_store_dword v201, off, s[24:27], 0 offset:28 ; 4-byte Folded Spill
	buffer_store_dword v205, off, s[24:27], 0 offset:32 ; 4-byte Folded Spill
	s_nop 0
	buffer_store_dword v206, off, s[24:27], 0 offset:36 ; 4-byte Folded Spill
	buffer_store_dword v207, off, s[24:27], 0 offset:40 ; 4-byte Folded Spill
	buffer_store_dword v208, off, s[24:27], 0 offset:44 ; 4-byte Folded Spill
	;; [unrolled: 5-line block ×3, first 2 shown]
	s_waitcnt lgkmcnt(0)
	; wave barrier
	s_waitcnt vmcnt(63) expcnt(7) lgkmcnt(15)
	ds_write_b128 v161, v[80:83]
	ds_write_b128 v161, v[84:87] offset:16
	ds_write_b128 v161, v[88:91] offset:32
	;; [unrolled: 1-line block ×8, first 2 shown]
	v_mul_u32_u24_e32 v80, 10, v231
	v_lshlrev_b32_e32 v80, 4, v80
	buffer_store_dword v161, off, s[24:27], 0 offset:648 ; 4-byte Folded Spill
	ds_write_b128 v161, v[100:103] offset:144
	ds_write_b128 v80, v[120:123]
	ds_write_b128 v80, v[124:127] offset:16
	ds_write_b128 v80, v[128:131] offset:32
	;; [unrolled: 1-line block ×8, first 2 shown]
	buffer_store_dword v80, off, s[24:27], 0 offset:652 ; 4-byte Folded Spill
	ds_write_b128 v80, v[140:143] offset:144
	v_mul_u32_u24_e32 v80, 10, v209
	v_lshlrev_b32_e32 v161, 4, v80
	ds_write_b128 v161, v[40:43]
	ds_write_b128 v161, v[44:47] offset:16
	ds_write_b128 v161, v[48:51] offset:32
	;; [unrolled: 1-line block ×9, first 2 shown]
	v_mul_u32_u24_e32 v40, 10, v232
	buffer_store_dword v40, off, s[24:27], 0 offset:1788 ; 4-byte Folded Spill
	s_and_saveexec_b64 s[0:1], vcc
	s_cbranch_execz .LBB0_7
; %bb.6:
	v_add_f64 v[6:7], v[38:39], v[6:7]
	v_add_f64 v[2:3], v[2:3], v[10:11]
	;; [unrolled: 1-line block ×9, first 2 shown]
	v_mul_u32_u24_e32 v18, 10, v232
	v_add_f64 v[14:15], v[170:171], v[186:187]
	v_add_f64 v[2:3], v[172:173], v[192:193]
	;; [unrolled: 1-line block ×9, first 2 shown]
	buffer_load_dword v27, off, s[24:27], 0 ; 4-byte Folded Reload
	buffer_load_dword v28, off, s[24:27], 0 offset:4 ; 4-byte Folded Reload
	buffer_load_dword v29, off, s[24:27], 0 offset:8 ; 4-byte Folded Reload
	;; [unrolled: 1-line block ×3, first 2 shown]
	v_lshlrev_b32_e32 v26, 4, v18
	v_add_f64 v[22:23], v[8:9], v[34:35]
	v_add_f64 v[24:25], v[4:5], v[24:25]
	v_add_f64 v[16:17], v[16:17], v[32:33]
	v_add_f64 v[12:13], v[162:163], v[178:179]
	v_add_f64 v[8:9], v[166:167], v[180:181]
	v_add_f64 v[4:5], v[168:169], v[182:183]
	v_add_f64 v[18:19], v[20:21], -v[22:23]
	v_add_f64 v[22:23], v[20:21], v[22:23]
	v_add_f64 v[20:21], v[24:25], v[16:17]
	v_add_f64 v[16:17], v[24:25], -v[16:17]
	s_waitcnt vmcnt(0)
	ds_write_b128 v26, v[27:30] offset:96
	buffer_load_dword v27, off, s[24:27], 0 offset:16 ; 4-byte Folded Reload
	buffer_load_dword v28, off, s[24:27], 0 offset:20 ; 4-byte Folded Reload
	;; [unrolled: 1-line block ×4, first 2 shown]
	s_waitcnt vmcnt(0)
	ds_write_b128 v26, v[27:30] offset:112
	buffer_load_dword v27, off, s[24:27], 0 offset:32 ; 4-byte Folded Reload
	buffer_load_dword v28, off, s[24:27], 0 offset:36 ; 4-byte Folded Reload
	;; [unrolled: 1-line block ×4, first 2 shown]
	s_waitcnt vmcnt(0)
	ds_write_b128 v26, v[27:30] offset:128
	ds_write_b128 v26, v[12:15] offset:16
	;; [unrolled: 1-line block ×5, first 2 shown]
	ds_write_b128 v26, v[20:23]
	ds_write_b128 v26, v[16:19] offset:80
	buffer_load_dword v0, off, s[24:27], 0 offset:48 ; 4-byte Folded Reload
	buffer_load_dword v1, off, s[24:27], 0 offset:52 ; 4-byte Folded Reload
	;; [unrolled: 1-line block ×4, first 2 shown]
	s_waitcnt vmcnt(0)
	ds_write_b128 v26, v[0:3] offset:144
.LBB0_7:
	s_or_b64 exec, exec, s[0:1]
	s_movk_i32 s0, 0xcd
	v_mul_lo_u16_sdwa v144, v204, s0 dst_sel:DWORD dst_unused:UNUSED_PAD src0_sel:BYTE_0 src1_sel:DWORD
	v_lshrrev_b16_e32 v210, 11, v144
	v_mul_lo_u16_e32 v144, 10, v210
	v_sub_u16_e32 v144, v204, v144
	v_mov_b32_e32 v149, s5
	s_add_u32 s2, s12, 0x8700
	v_and_b32_e32 v211, 0xff, v144
	s_movk_i32 s16, 0x50
	v_mov_b32_e32 v148, s4
	s_addc_u32 s3, s13, 0
	v_mad_u64_u32 v[144:145], s[12:13], v211, s16, v[148:149]
	s_waitcnt lgkmcnt(0)
	; wave barrier
	s_waitcnt lgkmcnt(0)
	ds_read_b128 v[20:23], v160
	ds_read_b128 v[124:127], v160 offset:5760
	ds_read_b128 v[128:131], v160 offset:11520
	;; [unrolled: 1-line block ×35, first 2 shown]
	global_load_dwordx4 v[150:153], v[144:145], off offset:48
	global_load_dwordx4 v[154:157], v[144:145], off offset:32
	;; [unrolled: 1-line block ×3, first 2 shown]
	global_load_dwordx4 v[167:170], v[144:145], off
	v_mov_b32_e32 v222, v204
	v_add_u32_e32 v233, 0xf0, v204
	v_add_u32_e32 v162, 0x12c, v204
	v_mov_b32_e32 v234, s5
	s_mov_b32 s14, 0xe8584caa
	s_mov_b32 s15, 0x3febb67a
	;; [unrolled: 1-line block ×3, first 2 shown]
	s_movk_i32 s17, 0x3000
	s_waitcnt vmcnt(0) lgkmcnt(14)
	v_mul_f64 v[146:147], v[126:127], v[169:170]
	v_fma_f64 v[197:198], v[124:125], v[167:168], -v[146:147]
	v_mul_f64 v[124:125], v[124:125], v[169:170]
	buffer_store_dword v167, off, s[24:27], 0 offset:632 ; 4-byte Folded Spill
	s_nop 0
	buffer_store_dword v168, off, s[24:27], 0 offset:636 ; 4-byte Folded Spill
	buffer_store_dword v169, off, s[24:27], 0 offset:640 ; 4-byte Folded Spill
	;; [unrolled: 1-line block ×3, first 2 shown]
	v_fma_f64 v[189:190], v[126:127], v[167:168], v[124:125]
	v_mul_f64 v[124:125], v[130:131], v[165:166]
	v_fma_f64 v[201:202], v[128:129], v[163:164], -v[124:125]
	v_mul_f64 v[124:125], v[128:129], v[165:166]
	buffer_store_dword v222, off, s[24:27], 0 offset:1784 ; 4-byte Folded Spill
	buffer_store_dword v163, off, s[24:27], 0 offset:600 ; 4-byte Folded Spill
	s_nop 0
	buffer_store_dword v164, off, s[24:27], 0 offset:604 ; 4-byte Folded Spill
	buffer_store_dword v165, off, s[24:27], 0 offset:608 ; 4-byte Folded Spill
	;; [unrolled: 1-line block ×3, first 2 shown]
	v_fma_f64 v[203:204], v[130:131], v[163:164], v[124:125]
	v_mul_f64 v[124:125], v[134:135], v[156:157]
	v_fma_f64 v[191:192], v[132:133], v[154:155], -v[124:125]
	v_mul_f64 v[124:125], v[132:133], v[156:157]
	buffer_store_dword v154, off, s[24:27], 0 offset:584 ; 4-byte Folded Spill
	s_nop 0
	buffer_store_dword v155, off, s[24:27], 0 offset:588 ; 4-byte Folded Spill
	buffer_store_dword v156, off, s[24:27], 0 offset:592 ; 4-byte Folded Spill
	;; [unrolled: 1-line block ×3, first 2 shown]
	v_fma_f64 v[193:194], v[134:135], v[154:155], v[124:125]
	v_mul_f64 v[124:125], v[138:139], v[152:153]
	v_fma_f64 v[205:206], v[136:137], v[150:151], -v[124:125]
	v_mul_f64 v[124:125], v[136:137], v[152:153]
	buffer_store_dword v150, off, s[24:27], 0 offset:568 ; 4-byte Folded Spill
	s_nop 0
	buffer_store_dword v151, off, s[24:27], 0 offset:572 ; 4-byte Folded Spill
	buffer_store_dword v152, off, s[24:27], 0 offset:576 ; 4-byte Folded Spill
	;; [unrolled: 1-line block ×3, first 2 shown]
	global_load_dwordx4 v[126:129], v[144:145], off offset:64
	v_fma_f64 v[207:208], v[138:139], v[150:151], v[124:125]
	s_waitcnt vmcnt(0)
	v_mul_f64 v[124:125], v[142:143], v[128:129]
	v_fma_f64 v[195:196], v[140:141], v[126:127], -v[124:125]
	v_mul_f64 v[124:125], v[140:141], v[128:129]
	buffer_store_dword v126, off, s[24:27], 0 offset:616 ; 4-byte Folded Spill
	s_nop 0
	buffer_store_dword v127, off, s[24:27], 0 offset:620 ; 4-byte Folded Spill
	buffer_store_dword v128, off, s[24:27], 0 offset:624 ; 4-byte Folded Spill
	;; [unrolled: 1-line block ×3, first 2 shown]
	v_fma_f64 v[199:200], v[142:143], v[126:127], v[124:125]
	v_mul_lo_u16_sdwa v124, v231, s0 dst_sel:DWORD dst_unused:UNUSED_PAD src0_sel:BYTE_0 src1_sel:DWORD
	v_lshrrev_b16_e32 v212, 11, v124
	v_mul_lo_u16_e32 v124, 10, v212
	v_sub_u16_e32 v124, v231, v124
	v_and_b32_e32 v213, 0xff, v124
	v_mad_u64_u32 v[124:125], s[12:13], v213, s16, v[148:149]
	global_load_dwordx4 v[128:131], v[124:125], off offset:48
	global_load_dwordx4 v[132:135], v[124:125], off offset:32
	;; [unrolled: 1-line block ×3, first 2 shown]
	global_load_dwordx4 v[140:143], v[124:125], off
	s_waitcnt vmcnt(0)
	v_mul_f64 v[126:127], v[122:123], v[142:143]
	v_fma_f64 v[177:178], v[120:121], v[140:141], -v[126:127]
	v_mul_f64 v[120:121], v[120:121], v[142:143]
	buffer_store_dword v140, off, s[24:27], 0 offset:720 ; 4-byte Folded Spill
	s_nop 0
	buffer_store_dword v141, off, s[24:27], 0 offset:724 ; 4-byte Folded Spill
	buffer_store_dword v142, off, s[24:27], 0 offset:728 ; 4-byte Folded Spill
	buffer_store_dword v143, off, s[24:27], 0 offset:732 ; 4-byte Folded Spill
	v_fma_f64 v[169:170], v[122:123], v[140:141], v[120:121]
	v_mul_f64 v[120:121], v[118:119], v[138:139]
	v_fma_f64 v[181:182], v[116:117], v[136:137], -v[120:121]
	v_mul_f64 v[116:117], v[116:117], v[138:139]
	buffer_store_dword v136, off, s[24:27], 0 offset:688 ; 4-byte Folded Spill
	s_nop 0
	buffer_store_dword v137, off, s[24:27], 0 offset:692 ; 4-byte Folded Spill
	buffer_store_dword v138, off, s[24:27], 0 offset:696 ; 4-byte Folded Spill
	buffer_store_dword v139, off, s[24:27], 0 offset:700 ; 4-byte Folded Spill
	v_fma_f64 v[183:184], v[118:119], v[136:137], v[116:117]
	;; [unrolled: 9-line block ×4, first 2 shown]
	global_load_dwordx4 v[110:113], v[124:125], off offset:64
	s_waitcnt vmcnt(0)
	v_mul_f64 v[108:109], v[106:107], v[112:113]
	v_fma_f64 v[175:176], v[104:105], v[110:111], -v[108:109]
	v_mul_f64 v[104:105], v[104:105], v[112:113]
	buffer_store_dword v110, off, s[24:27], 0 offset:704 ; 4-byte Folded Spill
	s_nop 0
	buffer_store_dword v111, off, s[24:27], 0 offset:708 ; 4-byte Folded Spill
	buffer_store_dword v112, off, s[24:27], 0 offset:712 ; 4-byte Folded Spill
	;; [unrolled: 1-line block ×3, first 2 shown]
	v_fma_f64 v[179:180], v[106:107], v[110:111], v[104:105]
	v_mul_lo_u16_sdwa v104, v209, s0 dst_sel:DWORD dst_unused:UNUSED_PAD src0_sel:BYTE_0 src1_sel:DWORD
	v_lshrrev_b16_e32 v214, 11, v104
	v_mul_lo_u16_e32 v104, 10, v214
	v_sub_u16_e32 v104, v209, v104
	v_and_b32_e32 v217, 0xff, v104
	v_mad_u64_u32 v[104:105], s[12:13], v217, s16, v[148:149]
	global_load_dwordx4 v[108:111], v[104:105], off offset:48
	global_load_dwordx4 v[112:115], v[104:105], off offset:32
	;; [unrolled: 1-line block ×3, first 2 shown]
	global_load_dwordx4 v[120:123], v[104:105], off
	s_mov_b32 s12, 0xcccd
	s_mov_b32 s13, 0xbfebb67a
	s_waitcnt vmcnt(0)
	v_mul_f64 v[106:107], v[102:103], v[122:123]
	v_fma_f64 v[128:129], v[100:101], v[120:121], -v[106:107]
	v_mul_f64 v[100:101], v[100:101], v[122:123]
	buffer_store_dword v120, off, s[24:27], 0 offset:864 ; 4-byte Folded Spill
	s_nop 0
	buffer_store_dword v121, off, s[24:27], 0 offset:868 ; 4-byte Folded Spill
	buffer_store_dword v122, off, s[24:27], 0 offset:872 ; 4-byte Folded Spill
	buffer_store_dword v123, off, s[24:27], 0 offset:876 ; 4-byte Folded Spill
	v_fma_f64 v[120:121], v[102:103], v[120:121], v[100:101]
	v_mul_f64 v[100:101], v[98:99], v[118:119]
	v_fma_f64 v[140:141], v[96:97], v[116:117], -v[100:101]
	v_mul_f64 v[96:97], v[96:97], v[118:119]
	buffer_store_dword v116, off, s[24:27], 0 offset:800 ; 4-byte Folded Spill
	s_nop 0
	buffer_store_dword v117, off, s[24:27], 0 offset:804 ; 4-byte Folded Spill
	buffer_store_dword v118, off, s[24:27], 0 offset:808 ; 4-byte Folded Spill
	buffer_store_dword v119, off, s[24:27], 0 offset:812 ; 4-byte Folded Spill
	v_fma_f64 v[142:143], v[98:99], v[116:117], v[96:97]
	;; [unrolled: 9-line block ×4, first 2 shown]
	global_load_dwordx4 v[90:93], v[104:105], off offset:64
	s_waitcnt vmcnt(0)
	v_mul_f64 v[88:89], v[86:87], v[92:93]
	v_fma_f64 v[126:127], v[84:85], v[90:91], -v[88:89]
	v_mul_f64 v[84:85], v[84:85], v[92:93]
	buffer_store_dword v90, off, s[24:27], 0 offset:816 ; 4-byte Folded Spill
	s_nop 0
	buffer_store_dword v91, off, s[24:27], 0 offset:820 ; 4-byte Folded Spill
	buffer_store_dword v92, off, s[24:27], 0 offset:824 ; 4-byte Folded Spill
	;; [unrolled: 1-line block ×3, first 2 shown]
	v_fma_f64 v[132:133], v[86:87], v[90:91], v[84:85]
	v_mul_lo_u16_sdwa v84, v232, s0 dst_sel:DWORD dst_unused:UNUSED_PAD src0_sel:BYTE_0 src1_sel:DWORD
	v_lshrrev_b16_e32 v215, 11, v84
	v_mul_lo_u16_e32 v84, 10, v215
	v_sub_u16_e32 v84, v232, v84
	v_and_b32_e32 v216, 0xff, v84
	v_mad_u64_u32 v[90:91], s[0:1], v216, s16, v[148:149]
	global_load_dwordx4 v[102:105], v[90:91], off offset:48
	global_load_dwordx4 v[106:109], v[90:91], off offset:32
	;; [unrolled: 1-line block ×3, first 2 shown]
	global_load_dwordx4 v[94:97], v[90:91], off
	s_waitcnt vmcnt(0)
	v_mul_f64 v[84:85], v[82:83], v[96:97]
	v_fma_f64 v[92:93], v[80:81], v[94:95], -v[84:85]
	v_mul_f64 v[80:81], v[80:81], v[96:97]
	buffer_store_dword v94, off, s[24:27], 0 offset:880 ; 4-byte Folded Spill
	s_nop 0
	buffer_store_dword v95, off, s[24:27], 0 offset:884 ; 4-byte Folded Spill
	buffer_store_dword v96, off, s[24:27], 0 offset:888 ; 4-byte Folded Spill
	buffer_store_dword v97, off, s[24:27], 0 offset:892 ; 4-byte Folded Spill
	v_fma_f64 v[84:85], v[82:83], v[94:95], v[80:81]
	v_mul_f64 v[80:81], v[78:79], v[88:89]
	v_fma_f64 v[96:97], v[76:77], v[86:87], -v[80:81]
	v_mul_f64 v[76:77], v[76:77], v[88:89]
	buffer_store_dword v86, off, s[24:27], 0 offset:832 ; 4-byte Folded Spill
	s_nop 0
	buffer_store_dword v87, off, s[24:27], 0 offset:836 ; 4-byte Folded Spill
	buffer_store_dword v88, off, s[24:27], 0 offset:840 ; 4-byte Folded Spill
	buffer_store_dword v89, off, s[24:27], 0 offset:844 ; 4-byte Folded Spill
	v_fma_f64 v[98:99], v[78:79], v[86:87], v[76:77]
	;; [unrolled: 9-line block ×3, first 2 shown]
	s_waitcnt lgkmcnt(13)
	v_mul_f64 v[72:73], v[70:71], v[104:105]
	v_fma_f64 v[100:101], v[68:69], v[102:103], -v[72:73]
	v_mul_f64 v[68:69], v[68:69], v[104:105]
	buffer_store_dword v102, off, s[24:27], 0 offset:752 ; 4-byte Folded Spill
	s_nop 0
	buffer_store_dword v103, off, s[24:27], 0 offset:756 ; 4-byte Folded Spill
	buffer_store_dword v104, off, s[24:27], 0 offset:760 ; 4-byte Folded Spill
	;; [unrolled: 1-line block ×3, first 2 shown]
	v_fma_f64 v[102:103], v[70:71], v[102:103], v[68:69]
	global_load_dwordx4 v[70:73], v[90:91], off offset:64
	s_waitcnt vmcnt(0) lgkmcnt(12)
	v_mul_f64 v[68:69], v[66:67], v[72:73]
	v_fma_f64 v[90:91], v[64:65], v[70:71], -v[68:69]
	v_mul_f64 v[64:65], v[64:65], v[72:73]
	buffer_store_dword v70, off, s[24:27], 0 offset:848 ; 4-byte Folded Spill
	s_nop 0
	buffer_store_dword v71, off, s[24:27], 0 offset:852 ; 4-byte Folded Spill
	buffer_store_dword v72, off, s[24:27], 0 offset:856 ; 4-byte Folded Spill
	;; [unrolled: 1-line block ×3, first 2 shown]
	v_fma_f64 v[94:95], v[66:67], v[70:71], v[64:65]
	v_mul_u32_u24_sdwa v64, v233, s12 dst_sel:DWORD dst_unused:UNUSED_PAD src0_sel:WORD_0 src1_sel:DWORD
	v_lshrrev_b32_e32 v218, 19, v64
	v_mul_lo_u16_e32 v64, 10, v218
	v_sub_u16_e32 v219, v233, v64
	v_mul_lo_u16_e32 v64, 0x50, v219
	v_add_co_u32_e64 v64, s[0:1], s4, v64
	v_addc_co_u32_e64 v65, s[0:1], 0, v234, s[0:1]
	global_load_dwordx4 v[68:71], v[64:65], off offset:48
	global_load_dwordx4 v[72:75], v[64:65], off offset:32
	;; [unrolled: 1-line block ×3, first 2 shown]
	global_load_dwordx4 v[80:83], v[64:65], off
	s_waitcnt vmcnt(0) lgkmcnt(10)
	v_mul_f64 v[66:67], v[62:63], v[82:83]
	v_fma_f64 v[110:111], v[60:61], v[80:81], -v[66:67]
	v_mul_f64 v[60:61], v[60:61], v[82:83]
	buffer_store_dword v80, off, s[24:27], 0 offset:948 ; 4-byte Folded Spill
	s_nop 0
	buffer_store_dword v81, off, s[24:27], 0 offset:952 ; 4-byte Folded Spill
	buffer_store_dword v82, off, s[24:27], 0 offset:956 ; 4-byte Folded Spill
	buffer_store_dword v83, off, s[24:27], 0 offset:960 ; 4-byte Folded Spill
	v_fma_f64 v[104:105], v[62:63], v[80:81], v[60:61]
	s_waitcnt lgkmcnt(9)
	v_mul_f64 v[60:61], v[58:59], v[78:79]
	v_fma_f64 v[112:113], v[56:57], v[76:77], -v[60:61]
	v_mul_f64 v[56:57], v[56:57], v[78:79]
	buffer_store_dword v76, off, s[24:27], 0 offset:932 ; 4-byte Folded Spill
	s_nop 0
	buffer_store_dword v77, off, s[24:27], 0 offset:936 ; 4-byte Folded Spill
	buffer_store_dword v78, off, s[24:27], 0 offset:940 ; 4-byte Folded Spill
	buffer_store_dword v79, off, s[24:27], 0 offset:944 ; 4-byte Folded Spill
	v_fma_f64 v[114:115], v[58:59], v[76:77], v[56:57]
	s_waitcnt lgkmcnt(8)
	;; [unrolled: 10-line block ×3, first 2 shown]
	v_mul_f64 v[52:53], v[50:51], v[70:71]
	v_fma_f64 v[116:117], v[48:49], v[68:69], -v[52:53]
	v_mul_f64 v[48:49], v[48:49], v[70:71]
	buffer_store_dword v68, off, s[24:27], 0 offset:900 ; 4-byte Folded Spill
	s_nop 0
	buffer_store_dword v69, off, s[24:27], 0 offset:904 ; 4-byte Folded Spill
	buffer_store_dword v70, off, s[24:27], 0 offset:908 ; 4-byte Folded Spill
	;; [unrolled: 1-line block ×3, first 2 shown]
	v_fma_f64 v[118:119], v[50:51], v[68:69], v[48:49]
	global_load_dwordx4 v[50:53], v[64:65], off offset:64
	s_waitcnt vmcnt(0) lgkmcnt(6)
	v_mul_f64 v[48:49], v[46:47], v[52:53]
	v_fma_f64 v[158:159], v[44:45], v[50:51], -v[48:49]
	v_mul_f64 v[44:45], v[44:45], v[52:53]
	buffer_store_dword v50, off, s[24:27], 0 offset:968 ; 4-byte Folded Spill
	s_nop 0
	buffer_store_dword v51, off, s[24:27], 0 offset:972 ; 4-byte Folded Spill
	buffer_store_dword v52, off, s[24:27], 0 offset:976 ; 4-byte Folded Spill
	;; [unrolled: 1-line block ×3, first 2 shown]
	v_fma_f64 v[163:164], v[46:47], v[50:51], v[44:45]
	v_mul_u32_u24_sdwa v44, v162, s12 dst_sel:DWORD dst_unused:UNUSED_PAD src0_sel:WORD_0 src1_sel:DWORD
	v_lshrrev_b32_e32 v220, 19, v44
	v_mul_lo_u16_e32 v44, 10, v220
	v_sub_u16_e32 v221, v162, v44
	v_mul_lo_u16_e32 v44, 0x50, v221
	v_add_co_u32_e64 v44, s[0:1], s4, v44
	v_addc_co_u32_e64 v45, s[0:1], 0, v234, s[0:1]
	global_load_dwordx4 v[48:51], v[44:45], off offset:48
	global_load_dwordx4 v[52:55], v[44:45], off offset:32
	;; [unrolled: 1-line block ×3, first 2 shown]
	global_load_dwordx4 v[60:63], v[44:45], off
	s_mov_b32 s12, s14
	s_waitcnt vmcnt(0) lgkmcnt(4)
	v_mul_f64 v[46:47], v[42:43], v[62:63]
	v_fma_f64 v[136:137], v[40:41], v[60:61], -v[46:47]
	v_mul_f64 v[40:41], v[40:41], v[62:63]
	buffer_store_dword v60, off, s[24:27], 0 offset:1032 ; 4-byte Folded Spill
	s_nop 0
	buffer_store_dword v61, off, s[24:27], 0 offset:1036 ; 4-byte Folded Spill
	buffer_store_dword v62, off, s[24:27], 0 offset:1040 ; 4-byte Folded Spill
	buffer_store_dword v63, off, s[24:27], 0 offset:1044 ; 4-byte Folded Spill
	v_fma_f64 v[130:131], v[42:43], v[60:61], v[40:41]
	s_waitcnt lgkmcnt(3)
	v_mul_f64 v[40:41], v[38:39], v[58:59]
	v_fma_f64 v[152:153], v[36:37], v[56:57], -v[40:41]
	v_mul_f64 v[36:37], v[36:37], v[58:59]
	buffer_store_dword v56, off, s[24:27], 0 offset:1016 ; 4-byte Folded Spill
	s_nop 0
	buffer_store_dword v57, off, s[24:27], 0 offset:1020 ; 4-byte Folded Spill
	buffer_store_dword v58, off, s[24:27], 0 offset:1024 ; 4-byte Folded Spill
	buffer_store_dword v59, off, s[24:27], 0 offset:1028 ; 4-byte Folded Spill
	v_fma_f64 v[156:157], v[38:39], v[56:57], v[36:37]
	s_waitcnt lgkmcnt(2)
	;; [unrolled: 10-line block ×3, first 2 shown]
	v_mul_f64 v[32:33], v[30:31], v[50:51]
	v_fma_f64 v[165:166], v[28:29], v[48:49], -v[32:33]
	v_mul_f64 v[28:29], v[28:29], v[50:51]
	buffer_store_dword v48, off, s[24:27], 0 offset:984 ; 4-byte Folded Spill
	s_nop 0
	buffer_store_dword v49, off, s[24:27], 0 offset:988 ; 4-byte Folded Spill
	buffer_store_dword v50, off, s[24:27], 0 offset:992 ; 4-byte Folded Spill
	;; [unrolled: 1-line block ×3, first 2 shown]
	v_fma_f64 v[167:168], v[30:31], v[48:49], v[28:29]
	global_load_dwordx4 v[30:33], v[44:45], off offset:64
	s_waitcnt vmcnt(0) lgkmcnt(0)
	v_mul_f64 v[28:29], v[26:27], v[32:33]
	v_fma_f64 v[150:151], v[24:25], v[30:31], -v[28:29]
	v_mul_f64 v[24:25], v[24:25], v[32:33]
	buffer_store_dword v30, off, s[24:27], 0 offset:1048 ; 4-byte Folded Spill
	s_nop 0
	buffer_store_dword v31, off, s[24:27], 0 offset:1052 ; 4-byte Folded Spill
	buffer_store_dword v32, off, s[24:27], 0 offset:1056 ; 4-byte Folded Spill
	;; [unrolled: 1-line block ×3, first 2 shown]
	s_waitcnt lgkmcnt(0)
	; wave barrier
	v_fma_f64 v[154:155], v[26:27], v[30:31], v[24:25]
	v_add_f64 v[24:25], v[20:21], v[201:202]
	v_add_f64 v[32:33], v[24:25], v[205:206]
	;; [unrolled: 1-line block ×3, first 2 shown]
	v_fma_f64 v[20:21], v[24:25], -0.5, v[20:21]
	v_add_f64 v[24:25], v[203:204], -v[207:208]
	v_fma_f64 v[34:35], v[24:25], s[14:15], v[20:21]
	v_fma_f64 v[38:39], v[24:25], s[12:13], v[20:21]
	v_add_f64 v[20:21], v[22:23], v[203:204]
	v_add_f64 v[24:25], v[191:192], -v[195:196]
	v_add_f64 v[42:43], v[20:21], v[207:208]
	v_add_f64 v[20:21], v[203:204], v[207:208]
	v_fma_f64 v[20:21], v[20:21], -0.5, v[22:23]
	v_add_f64 v[22:23], v[201:202], -v[205:206]
	v_fma_f64 v[44:45], v[22:23], s[12:13], v[20:21]
	v_fma_f64 v[46:47], v[22:23], s[14:15], v[20:21]
	v_add_f64 v[20:21], v[197:198], v[191:192]
	v_add_f64 v[22:23], v[193:194], -v[199:200]
	v_add_f64 v[36:37], v[20:21], v[195:196]
	v_add_f64 v[20:21], v[191:192], v[195:196]
	;; [unrolled: 1-line block ×3, first 2 shown]
	v_fma_f64 v[20:21], v[20:21], -0.5, v[197:198]
	v_fma_f64 v[26:27], v[22:23], s[14:15], v[20:21]
	v_fma_f64 v[22:23], v[22:23], s[12:13], v[20:21]
	v_add_f64 v[20:21], v[189:190], v[193:194]
	v_add_f64 v[48:49], v[20:21], v[199:200]
	;; [unrolled: 1-line block ×4, first 2 shown]
	v_fma_f64 v[20:21], v[20:21], -0.5, v[189:190]
	v_add_f64 v[42:43], v[42:43], -v[48:49]
	v_fma_f64 v[40:41], v[24:25], s[12:13], v[20:21]
	v_fma_f64 v[50:51], v[24:25], s[14:15], v[20:21]
	v_mul_f64 v[20:21], v[40:41], s[14:15]
	v_fma_f64 v[52:53], v[26:27], 0.5, v[20:21]
	v_mul_f64 v[20:21], v[22:23], -0.5
	v_mul_f64 v[26:27], v[26:27], s[12:13]
	v_add_f64 v[24:25], v[34:35], v[52:53]
	v_fma_f64 v[54:55], v[50:51], s[14:15], v[20:21]
	v_fma_f64 v[56:57], v[40:41], 0.5, v[26:27]
	v_mul_f64 v[40:41], v[50:51], -0.5
	v_add_f64 v[20:21], v[38:39], v[54:55]
	v_add_f64 v[26:27], v[44:45], v[56:57]
	v_fma_f64 v[50:51], v[22:23], s[12:13], v[40:41]
	v_add_f64 v[40:41], v[32:33], -v[36:37]
	v_add_f64 v[32:33], v[38:39], -v[54:55]
	;; [unrolled: 1-line block ×3, first 2 shown]
	v_add_f64 v[44:45], v[16:17], v[181:182]
	v_add_f64 v[36:37], v[34:35], -v[52:53]
	v_add_f64 v[22:23], v[46:47], v[50:51]
	v_add_f64 v[34:35], v[46:47], -v[50:51]
	v_add_f64 v[52:53], v[44:45], v[185:186]
	v_add_f64 v[44:45], v[181:182], v[185:186]
	v_fma_f64 v[16:17], v[44:45], -0.5, v[16:17]
	v_add_f64 v[44:45], v[183:184], -v[187:188]
	v_fma_f64 v[54:55], v[44:45], s[14:15], v[16:17]
	v_fma_f64 v[58:59], v[44:45], s[12:13], v[16:17]
	v_add_f64 v[16:17], v[18:19], v[183:184]
	v_add_f64 v[44:45], v[171:172], -v[175:176]
	v_add_f64 v[62:63], v[16:17], v[187:188]
	v_add_f64 v[16:17], v[183:184], v[187:188]
	v_fma_f64 v[16:17], v[16:17], -0.5, v[18:19]
	v_add_f64 v[18:19], v[181:182], -v[185:186]
	v_fma_f64 v[64:65], v[18:19], s[12:13], v[16:17]
	v_fma_f64 v[66:67], v[18:19], s[14:15], v[16:17]
	v_add_f64 v[16:17], v[177:178], v[171:172]
	v_add_f64 v[18:19], v[173:174], -v[179:180]
	v_add_f64 v[56:57], v[16:17], v[175:176]
	v_add_f64 v[16:17], v[171:172], v[175:176]
	;; [unrolled: 1-line block ×3, first 2 shown]
	v_fma_f64 v[16:17], v[16:17], -0.5, v[177:178]
	v_fma_f64 v[46:47], v[18:19], s[14:15], v[16:17]
	v_fma_f64 v[18:19], v[18:19], s[12:13], v[16:17]
	v_add_f64 v[16:17], v[169:170], v[173:174]
	v_add_f64 v[68:69], v[16:17], v[179:180]
	;; [unrolled: 1-line block ×4, first 2 shown]
	v_fma_f64 v[16:17], v[16:17], -0.5, v[169:170]
	v_add_f64 v[62:63], v[62:63], -v[68:69]
	v_fma_f64 v[60:61], v[44:45], s[12:13], v[16:17]
	v_fma_f64 v[70:71], v[44:45], s[14:15], v[16:17]
	v_mul_f64 v[16:17], v[60:61], s[14:15]
	v_fma_f64 v[72:73], v[46:47], 0.5, v[16:17]
	v_mul_f64 v[16:17], v[18:19], -0.5
	v_mul_f64 v[46:47], v[46:47], s[12:13]
	v_add_f64 v[44:45], v[54:55], v[72:73]
	v_fma_f64 v[74:75], v[70:71], s[14:15], v[16:17]
	v_fma_f64 v[76:77], v[60:61], 0.5, v[46:47]
	v_mul_f64 v[60:61], v[70:71], -0.5
	v_add_f64 v[16:17], v[58:59], v[74:75]
	v_add_f64 v[46:47], v[64:65], v[76:77]
	v_fma_f64 v[70:71], v[18:19], s[12:13], v[60:61]
	v_add_f64 v[60:61], v[52:53], -v[56:57]
	v_add_f64 v[52:53], v[58:59], -v[74:75]
	;; [unrolled: 1-line block ×3, first 2 shown]
	v_add_f64 v[64:65], v[12:13], v[140:141]
	v_add_f64 v[56:57], v[54:55], -v[72:73]
	v_add_f64 v[18:19], v[66:67], v[70:71]
	v_add_f64 v[54:55], v[66:67], -v[70:71]
	v_add_f64 v[72:73], v[64:65], v[144:145]
	v_add_f64 v[64:65], v[140:141], v[144:145]
	v_fma_f64 v[12:13], v[64:65], -0.5, v[12:13]
	v_add_f64 v[64:65], v[142:143], -v[146:147]
	v_fma_f64 v[74:75], v[64:65], s[14:15], v[12:13]
	v_fma_f64 v[78:79], v[64:65], s[12:13], v[12:13]
	v_add_f64 v[12:13], v[14:15], v[142:143]
	v_add_f64 v[64:65], v[122:123], -v[126:127]
	v_add_f64 v[82:83], v[12:13], v[146:147]
	v_add_f64 v[12:13], v[142:143], v[146:147]
	v_fma_f64 v[12:13], v[12:13], -0.5, v[14:15]
	v_add_f64 v[14:15], v[140:141], -v[144:145]
	v_fma_f64 v[140:141], v[14:15], s[12:13], v[12:13]
	v_fma_f64 v[142:143], v[14:15], s[14:15], v[12:13]
	v_add_f64 v[12:13], v[128:129], v[122:123]
	v_add_f64 v[14:15], v[124:125], -v[132:133]
	v_add_f64 v[76:77], v[12:13], v[126:127]
	v_add_f64 v[12:13], v[122:123], v[126:127]
	;; [unrolled: 1-line block ×3, first 2 shown]
	v_fma_f64 v[12:13], v[12:13], -0.5, v[128:129]
	v_fma_f64 v[66:67], v[14:15], s[14:15], v[12:13]
	v_fma_f64 v[14:15], v[14:15], s[12:13], v[12:13]
	v_add_f64 v[12:13], v[120:121], v[124:125]
	v_add_f64 v[128:129], v[12:13], v[132:133]
	;; [unrolled: 1-line block ×4, first 2 shown]
	v_fma_f64 v[12:13], v[12:13], -0.5, v[120:121]
	v_add_f64 v[82:83], v[82:83], -v[128:129]
	v_fma_f64 v[80:81], v[64:65], s[12:13], v[12:13]
	v_fma_f64 v[120:121], v[64:65], s[14:15], v[12:13]
	v_mul_f64 v[12:13], v[80:81], s[14:15]
	v_fma_f64 v[122:123], v[66:67], 0.5, v[12:13]
	v_mul_f64 v[66:67], v[66:67], s[12:13]
	v_mul_f64 v[12:13], v[14:15], -0.5
	v_add_f64 v[64:65], v[74:75], v[122:123]
	v_fma_f64 v[126:127], v[80:81], 0.5, v[66:67]
	v_mul_f64 v[80:81], v[120:121], -0.5
	v_fma_f64 v[124:125], v[120:121], s[14:15], v[12:13]
	v_add_f64 v[66:67], v[140:141], v[126:127]
	v_fma_f64 v[120:121], v[14:15], s[12:13], v[80:81]
	v_add_f64 v[80:81], v[72:73], -v[76:77]
	v_add_f64 v[76:77], v[74:75], -v[122:123]
	v_add_f64 v[122:123], v[96:97], v[100:101]
	v_add_f64 v[12:13], v[78:79], v[124:125]
	v_add_f64 v[72:73], v[78:79], -v[124:125]
	v_add_f64 v[78:79], v[140:141], -v[126:127]
	v_add_f64 v[14:15], v[142:143], v[120:121]
	v_add_f64 v[74:75], v[142:143], -v[120:121]
	v_add_f64 v[120:121], v[8:9], v[96:97]
	v_fma_f64 v[8:9], v[122:123], -0.5, v[8:9]
	v_add_f64 v[122:123], v[98:99], -v[102:103]
	v_add_f64 v[120:121], v[120:121], v[100:101]
	v_fma_f64 v[124:125], v[122:123], s[14:15], v[8:9]
	v_fma_f64 v[122:123], v[122:123], s[12:13], v[8:9]
	v_add_f64 v[8:9], v[10:11], v[98:99]
	v_add_f64 v[126:127], v[8:9], v[102:103]
	;; [unrolled: 1-line block ×3, first 2 shown]
	v_fma_f64 v[8:9], v[8:9], -0.5, v[10:11]
	v_add_f64 v[10:11], v[96:97], -v[100:101]
	v_fma_f64 v[98:99], v[10:11], s[12:13], v[8:9]
	v_fma_f64 v[128:129], v[10:11], s[14:15], v[8:9]
	v_add_f64 v[8:9], v[92:93], v[86:87]
	v_add_f64 v[10:11], v[88:89], -v[94:95]
	v_add_f64 v[96:97], v[8:9], v[90:91]
	v_add_f64 v[8:9], v[86:87], v[90:91]
	v_add_f64 v[100:101], v[120:121], -v[96:97]
	v_fma_f64 v[8:9], v[8:9], -0.5, v[92:93]
	v_fma_f64 v[92:93], v[10:11], s[14:15], v[8:9]
	v_fma_f64 v[10:11], v[10:11], s[12:13], v[8:9]
	v_add_f64 v[8:9], v[84:85], v[88:89]
	v_add_f64 v[102:103], v[8:9], v[94:95]
	;; [unrolled: 1-line block ×5, first 2 shown]
	v_fma_f64 v[8:9], v[8:9], -0.5, v[84:85]
	v_add_f64 v[84:85], v[86:87], -v[90:91]
	v_add_f64 v[90:91], v[126:127], v[102:103]
	v_add_f64 v[102:103], v[126:127], -v[102:103]
	v_add_f64 v[120:121], v[120:121], v[116:117]
	v_fma_f64 v[86:87], v[84:85], s[12:13], v[8:9]
	v_fma_f64 v[94:95], v[84:85], s[14:15], v[8:9]
	v_mul_f64 v[8:9], v[86:87], s[14:15]
	v_fma_f64 v[132:133], v[92:93], 0.5, v[8:9]
	v_mul_f64 v[8:9], v[10:11], -0.5
	v_mul_f64 v[92:93], v[92:93], s[12:13]
	v_add_f64 v[84:85], v[124:125], v[132:133]
	v_fma_f64 v[140:141], v[94:95], s[14:15], v[8:9]
	v_fma_f64 v[142:143], v[86:87], 0.5, v[92:93]
	v_mul_f64 v[92:93], v[94:95], -0.5
	v_add_f64 v[96:97], v[124:125], -v[132:133]
	v_add_f64 v[8:9], v[122:123], v[140:141]
	v_add_f64 v[86:87], v[98:99], v[142:143]
	v_fma_f64 v[94:95], v[10:11], s[12:13], v[92:93]
	v_add_f64 v[92:93], v[122:123], -v[140:141]
	v_add_f64 v[122:123], v[112:113], v[116:117]
	v_add_f64 v[98:99], v[98:99], -v[142:143]
	v_add_f64 v[10:11], v[128:129], v[94:95]
	v_add_f64 v[94:95], v[128:129], -v[94:95]
	v_fma_f64 v[4:5], v[122:123], -0.5, v[4:5]
	v_add_f64 v[122:123], v[114:115], -v[118:119]
	v_fma_f64 v[124:125], v[122:123], s[14:15], v[4:5]
	v_fma_f64 v[122:123], v[122:123], s[12:13], v[4:5]
	v_add_f64 v[4:5], v[6:7], v[114:115]
	v_add_f64 v[126:127], v[4:5], v[118:119]
	;; [unrolled: 1-line block ×3, first 2 shown]
	v_fma_f64 v[4:5], v[4:5], -0.5, v[6:7]
	v_add_f64 v[6:7], v[112:113], -v[116:117]
	v_fma_f64 v[118:119], v[6:7], s[12:13], v[4:5]
	v_fma_f64 v[128:129], v[6:7], s[14:15], v[4:5]
	v_add_f64 v[4:5], v[110:111], v[106:107]
	v_add_f64 v[6:7], v[108:109], -v[163:164]
	v_add_f64 v[112:113], v[4:5], v[158:159]
	v_add_f64 v[4:5], v[106:107], v[158:159]
	v_fma_f64 v[4:5], v[4:5], -0.5, v[110:111]
	v_fma_f64 v[110:111], v[6:7], s[14:15], v[4:5]
	v_fma_f64 v[114:115], v[6:7], s[12:13], v[4:5]
	v_add_f64 v[4:5], v[104:105], v[108:109]
	v_add_f64 v[6:7], v[106:107], -v[158:159]
	v_add_f64 v[132:133], v[4:5], v[163:164]
	v_add_f64 v[4:5], v[108:109], v[163:164]
	v_fma_f64 v[4:5], v[4:5], -0.5, v[104:105]
	v_fma_f64 v[106:107], v[6:7], s[12:13], v[4:5]
	v_fma_f64 v[116:117], v[6:7], s[14:15], v[4:5]
	v_add_f64 v[4:5], v[120:121], v[112:113]
	v_add_f64 v[112:113], v[120:121], -v[112:113]
	v_mul_f64 v[6:7], v[106:107], s[14:15]
	v_fma_f64 v[140:141], v[110:111], 0.5, v[6:7]
	v_mul_f64 v[6:7], v[114:115], -0.5
	v_mul_f64 v[110:111], v[110:111], s[12:13]
	v_add_f64 v[104:105], v[124:125], v[140:141]
	v_fma_f64 v[142:143], v[116:117], s[14:15], v[6:7]
	v_fma_f64 v[144:145], v[106:107], 0.5, v[110:111]
	v_mul_f64 v[110:111], v[116:117], -0.5
	v_add_f64 v[116:117], v[124:125], -v[140:141]
	v_add_f64 v[124:125], v[0:1], v[152:153]
	v_add_f64 v[6:7], v[126:127], v[132:133]
	;; [unrolled: 1-line block ×3, first 2 shown]
	v_add_f64 v[120:121], v[122:123], -v[142:143]
	v_fma_f64 v[146:147], v[114:115], s[12:13], v[110:111]
	v_add_f64 v[114:115], v[126:127], -v[132:133]
	v_add_f64 v[132:133], v[124:125], v[165:166]
	v_add_f64 v[124:125], v[152:153], v[165:166]
	;; [unrolled: 1-line block ×3, first 2 shown]
	v_add_f64 v[118:119], v[118:119], -v[144:145]
	v_add_f64 v[110:111], v[128:129], v[146:147]
	v_add_f64 v[122:123], v[128:129], -v[146:147]
	v_fma_f64 v[0:1], v[124:125], -0.5, v[0:1]
	v_add_f64 v[124:125], v[156:157], -v[167:168]
	v_fma_f64 v[140:141], v[124:125], s[14:15], v[0:1]
	v_fma_f64 v[142:143], v[124:125], s[12:13], v[0:1]
	v_add_f64 v[0:1], v[2:3], v[156:157]
	v_add_f64 v[144:145], v[0:1], v[167:168]
	;; [unrolled: 1-line block ×3, first 2 shown]
	v_fma_f64 v[0:1], v[0:1], -0.5, v[2:3]
	v_add_f64 v[2:3], v[152:153], -v[165:166]
	v_fma_f64 v[146:147], v[2:3], s[12:13], v[0:1]
	v_fma_f64 v[152:153], v[2:3], s[14:15], v[0:1]
	v_add_f64 v[0:1], v[136:137], v[134:135]
	v_add_f64 v[2:3], v[138:139], -v[154:155]
	v_add_f64 v[156:157], v[0:1], v[150:151]
	v_add_f64 v[0:1], v[134:135], v[150:151]
	v_fma_f64 v[0:1], v[0:1], -0.5, v[136:137]
	v_fma_f64 v[126:127], v[2:3], s[14:15], v[0:1]
	v_fma_f64 v[136:137], v[2:3], s[12:13], v[0:1]
	v_add_f64 v[0:1], v[130:131], v[138:139]
	v_add_f64 v[2:3], v[134:135], -v[150:151]
	v_add_f64 v[158:159], v[0:1], v[154:155]
	v_add_f64 v[0:1], v[138:139], v[154:155]
	v_fma_f64 v[0:1], v[0:1], -0.5, v[130:131]
	v_fma_f64 v[130:131], v[2:3], s[12:13], v[0:1]
	v_fma_f64 v[134:135], v[2:3], s[14:15], v[0:1]
	v_add_f64 v[0:1], v[132:133], v[156:157]
	v_add_f64 v[132:133], v[132:133], -v[156:157]
	v_mul_f64 v[2:3], v[130:131], s[14:15]
	v_fma_f64 v[138:139], v[126:127], 0.5, v[2:3]
	v_mul_f64 v[126:127], v[126:127], s[12:13]
	v_mul_f64 v[2:3], v[136:137], -0.5
	v_add_f64 v[124:125], v[140:141], v[138:139]
	v_fma_f64 v[154:155], v[130:131], 0.5, v[126:127]
	v_mul_f64 v[130:131], v[134:135], -0.5
	v_fma_f64 v[150:151], v[134:135], s[14:15], v[2:3]
	v_add_f64 v[2:3], v[144:145], v[158:159]
	v_add_f64 v[134:135], v[144:145], -v[158:159]
	v_mul_u32_u24_e32 v144, 60, v210
	v_add_lshl_u32 v144, v144, v211, 4
	ds_write_b128 v144, v[28:31]
	ds_write_b128 v144, v[24:27] offset:160
	ds_write_b128 v144, v[20:23] offset:320
	;; [unrolled: 1-line block ×4, first 2 shown]
	v_mul_u32_u24_e32 v20, 60, v212
	v_fma_f64 v[163:164], v[136:137], s[12:13], v[130:131]
	v_add_lshl_u32 v20, v20, v213, 4
	v_add_f64 v[128:129], v[142:143], v[150:151]
	v_add_f64 v[136:137], v[140:141], -v[138:139]
	v_add_f64 v[140:141], v[142:143], -v[150:151]
	buffer_store_dword v144, off, s[24:27], 0 offset:1132 ; 4-byte Folded Spill
	ds_write_b128 v144, v[32:35] offset:800
	ds_write_b128 v20, v[48:51]
	ds_write_b128 v20, v[44:47] offset:160
	ds_write_b128 v20, v[16:19] offset:320
	ds_write_b128 v20, v[60:63] offset:480
	ds_write_b128 v20, v[56:59] offset:640
	v_add_f64 v[142:143], v[152:153], -v[163:164]
	v_mul_u32_u24_e32 v16, 60, v214
	v_add_f64 v[126:127], v[146:147], v[154:155]
	v_add_lshl_u32 v16, v16, v217, 4
	v_add_f64 v[130:131], v[152:153], v[163:164]
	buffer_store_dword v20, off, s[24:27], 0 offset:1080 ; 4-byte Folded Spill
	ds_write_b128 v20, v[52:55] offset:800
	ds_write_b128 v16, v[68:71]
	ds_write_b128 v16, v[64:67] offset:160
	ds_write_b128 v16, v[12:15] offset:320
	;; [unrolled: 1-line block ×4, first 2 shown]
	v_mul_u32_u24_e32 v12, 60, v215
	v_add_lshl_u32 v12, v12, v216, 4
	v_add_f64 v[138:139], v[146:147], -v[154:155]
	buffer_store_dword v16, off, s[24:27], 0 offset:1076 ; 4-byte Folded Spill
	ds_write_b128 v16, v[72:75] offset:800
	ds_write_b128 v12, v[88:91]
	ds_write_b128 v12, v[84:87] offset:160
	ds_write_b128 v12, v[8:11] offset:320
	;; [unrolled: 1-line block ×4, first 2 shown]
	v_mad_legacy_u16 v8, v218, 60, v219
	v_mad_u64_u32 v[150:151], s[0:1], v222, s16, v[148:149]
	v_lshlrev_b32_e32 v8, 4, v8
	buffer_store_dword v12, off, s[24:27], 0 offset:1072 ; 4-byte Folded Spill
	ds_write_b128 v12, v[92:95] offset:800
	ds_write_b128 v8, v[4:7]
	ds_write_b128 v8, v[104:107] offset:160
	ds_write_b128 v8, v[108:111] offset:320
	;; [unrolled: 1-line block ×4, first 2 shown]
	v_mad_legacy_u16 v4, v220, 60, v221
	v_lshlrev_b32_e32 v4, 4, v4
	buffer_store_dword v8, off, s[24:27], 0 offset:1068 ; 4-byte Folded Spill
	ds_write_b128 v8, v[120:123] offset:800
	ds_write_b128 v4, v[0:3]
	ds_write_b128 v4, v[124:127] offset:160
	ds_write_b128 v4, v[128:131] offset:320
	;; [unrolled: 1-line block ×4, first 2 shown]
	buffer_store_dword v4, off, s[24:27], 0 offset:1064 ; 4-byte Folded Spill
	ds_write_b128 v4, v[140:143] offset:800
	s_waitcnt lgkmcnt(0)
	; wave barrier
	s_waitcnt lgkmcnt(0)
	ds_read_b128 v[36:39], v160
	ds_read_b128 v[16:19], v160 offset:5760
	ds_read_b128 v[152:155], v160 offset:11520
	;; [unrolled: 1-line block ×35, first 2 shown]
	global_load_dwordx4 v[0:3], v[150:151], off offset:848
	global_load_dwordx4 v[4:7], v[150:151], off offset:832
	;; [unrolled: 1-line block ×4, first 2 shown]
	s_movk_i32 s0, 0x89
	s_waitcnt vmcnt(0) lgkmcnt(14)
	v_mul_f64 v[167:168], v[18:19], v[14:15]
	v_fma_f64 v[217:218], v[16:17], v[12:13], -v[167:168]
	v_mul_f64 v[16:17], v[16:17], v[14:15]
	v_fma_f64 v[211:212], v[18:19], v[12:13], v[16:17]
	v_mul_f64 v[16:17], v[154:155], v[10:11]
	v_fma_f64 v[219:220], v[152:153], v[8:9], -v[16:17]
	v_mul_f64 v[16:17], v[152:153], v[10:11]
	v_fma_f64 v[221:222], v[154:155], v[8:9], v[16:17]
	;; [unrolled: 4-line block ×4, first 2 shown]
	global_load_dwordx4 v[16:19], v[150:151], off offset:864
	s_waitcnt vmcnt(0)
	v_mul_f64 v[152:153], v[146:147], v[18:19]
	v_fma_f64 v[227:228], v[144:145], v[16:17], -v[152:153]
	v_mul_f64 v[144:145], v[144:145], v[18:19]
	v_fma_f64 v[229:230], v[146:147], v[16:17], v[144:145]
	v_mul_f64 v[144:145], v[142:143], v[14:15]
	v_fma_f64 v[193:194], v[140:141], v[12:13], -v[144:145]
	v_mul_f64 v[140:141], v[140:141], v[14:15]
	v_fma_f64 v[183:184], v[142:143], v[12:13], v[140:141]
	;; [unrolled: 4-line block ×6, first 2 shown]
	v_mul_lo_u16_sdwa v124, v209, s0 dst_sel:DWORD dst_unused:UNUSED_PAD src0_sel:BYTE_0 src1_sel:DWORD
	v_lshrrev_b16_e32 v124, 13, v124
	v_mul_lo_u16_e32 v124, 60, v124
	v_sub_u16_e32 v124, v209, v124
	v_and_b32_e32 v235, 0xff, v124
	v_mad_u64_u32 v[124:125], s[18:19], v235, s16, v[148:149]
	global_load_dwordx4 v[128:131], v[124:125], off offset:848
	global_load_dwordx4 v[132:135], v[124:125], off offset:832
	;; [unrolled: 1-line block ×4, first 2 shown]
	s_movk_i32 s18, 0x4000
	s_waitcnt vmcnt(0)
	v_mul_f64 v[126:127], v[122:123], v[142:143]
	v_fma_f64 v[171:172], v[120:121], v[140:141], -v[126:127]
	v_mul_f64 v[120:121], v[120:121], v[142:143]
	buffer_store_dword v140, off, s[24:27], 0 offset:1136 ; 4-byte Folded Spill
	s_nop 0
	buffer_store_dword v141, off, s[24:27], 0 offset:1140 ; 4-byte Folded Spill
	buffer_store_dword v142, off, s[24:27], 0 offset:1144 ; 4-byte Folded Spill
	buffer_store_dword v143, off, s[24:27], 0 offset:1148 ; 4-byte Folded Spill
	v_fma_f64 v[120:121], v[122:123], v[140:141], v[120:121]
	v_mul_f64 v[122:123], v[118:119], v[138:139]
	v_fma_f64 v[122:123], v[116:117], v[136:137], -v[122:123]
	v_mul_f64 v[116:117], v[116:117], v[138:139]
	buffer_store_dword v136, off, s[24:27], 0 offset:1116 ; 4-byte Folded Spill
	s_nop 0
	buffer_store_dword v137, off, s[24:27], 0 offset:1120 ; 4-byte Folded Spill
	buffer_store_dword v138, off, s[24:27], 0 offset:1124 ; 4-byte Folded Spill
	buffer_store_dword v139, off, s[24:27], 0 offset:1128 ; 4-byte Folded Spill
	v_fma_f64 v[118:119], v[118:119], v[136:137], v[116:117]
	;; [unrolled: 9-line block ×3, first 2 shown]
	v_mul_f64 v[114:115], v[110:111], v[130:131]
	v_fma_f64 v[114:115], v[108:109], v[128:129], -v[114:115]
	v_mul_f64 v[108:109], v[108:109], v[130:131]
	buffer_store_dword v128, off, s[24:27], 0 offset:1084 ; 4-byte Folded Spill
	s_nop 0
	buffer_store_dword v129, off, s[24:27], 0 offset:1088 ; 4-byte Folded Spill
	buffer_store_dword v130, off, s[24:27], 0 offset:1092 ; 4-byte Folded Spill
	;; [unrolled: 1-line block ×3, first 2 shown]
	global_load_dwordx4 v[124:127], v[124:125], off offset:864
	v_fma_f64 v[108:109], v[110:111], v[128:129], v[108:109]
	s_waitcnt vmcnt(0)
	v_mul_f64 v[110:111], v[106:107], v[126:127]
	v_fma_f64 v[207:208], v[104:105], v[124:125], -v[110:111]
	v_mul_f64 v[104:105], v[104:105], v[126:127]
	buffer_store_dword v124, off, s[24:27], 0 offset:1152 ; 4-byte Folded Spill
	s_nop 0
	buffer_store_dword v125, off, s[24:27], 0 offset:1156 ; 4-byte Folded Spill
	buffer_store_dword v126, off, s[24:27], 0 offset:1160 ; 4-byte Folded Spill
	;; [unrolled: 1-line block ×3, first 2 shown]
	v_fma_f64 v[209:210], v[106:107], v[124:125], v[104:105]
	v_mul_lo_u16_sdwa v104, v232, s0 dst_sel:DWORD dst_unused:UNUSED_PAD src0_sel:BYTE_0 src1_sel:DWORD
	v_lshrrev_b16_e32 v104, 13, v104
	v_mul_lo_u16_e32 v104, 60, v104
	v_sub_u16_e32 v104, v232, v104
	v_and_b32_e32 v232, 0xff, v104
	v_mad_u64_u32 v[124:125], s[0:1], v232, s16, v[148:149]
	global_load_dwordx4 v[126:129], v[124:125], off offset:848
	global_load_dwordx4 v[130:133], v[124:125], off offset:832
	;; [unrolled: 1-line block ×4, first 2 shown]
	s_waitcnt vmcnt(0)
	v_mul_f64 v[104:105], v[98:99], v[140:141]
	v_fma_f64 v[106:107], v[96:97], v[138:139], -v[104:105]
	v_mul_f64 v[96:97], v[96:97], v[140:141]
	buffer_store_dword v138, off, s[24:27], 0 offset:1216 ; 4-byte Folded Spill
	s_nop 0
	buffer_store_dword v139, off, s[24:27], 0 offset:1220 ; 4-byte Folded Spill
	buffer_store_dword v140, off, s[24:27], 0 offset:1224 ; 4-byte Folded Spill
	buffer_store_dword v141, off, s[24:27], 0 offset:1228 ; 4-byte Folded Spill
	v_fma_f64 v[104:105], v[98:99], v[138:139], v[96:97]
	v_mul_f64 v[96:97], v[94:95], v[136:137]
	v_fma_f64 v[179:180], v[92:93], v[134:135], -v[96:97]
	v_mul_f64 v[92:93], v[92:93], v[136:137]
	buffer_store_dword v134, off, s[24:27], 0 offset:1200 ; 4-byte Folded Spill
	s_nop 0
	buffer_store_dword v135, off, s[24:27], 0 offset:1204 ; 4-byte Folded Spill
	buffer_store_dword v136, off, s[24:27], 0 offset:1208 ; 4-byte Folded Spill
	buffer_store_dword v137, off, s[24:27], 0 offset:1212 ; 4-byte Folded Spill
	v_fma_f64 v[181:182], v[94:95], v[134:135], v[92:93]
	;; [unrolled: 9-line block ×3, first 2 shown]
	s_waitcnt lgkmcnt(13)
	v_mul_f64 v[88:89], v[86:87], v[128:129]
	v_fma_f64 v[189:190], v[84:85], v[126:127], -v[88:89]
	v_mul_f64 v[84:85], v[84:85], v[128:129]
	buffer_store_dword v126, off, s[24:27], 0 offset:1168 ; 4-byte Folded Spill
	s_nop 0
	buffer_store_dword v127, off, s[24:27], 0 offset:1172 ; 4-byte Folded Spill
	buffer_store_dword v128, off, s[24:27], 0 offset:1176 ; 4-byte Folded Spill
	;; [unrolled: 1-line block ×3, first 2 shown]
	v_fma_f64 v[195:196], v[86:87], v[126:127], v[84:85]
	global_load_dwordx4 v[86:89], v[124:125], off offset:864
	s_waitcnt vmcnt(0) lgkmcnt(12)
	v_mul_f64 v[84:85], v[82:83], v[88:89]
	v_fma_f64 v[175:176], v[80:81], v[86:87], -v[84:85]
	v_mul_f64 v[80:81], v[80:81], v[88:89]
	buffer_store_dword v86, off, s[24:27], 0 offset:1232 ; 4-byte Folded Spill
	s_nop 0
	buffer_store_dword v87, off, s[24:27], 0 offset:1236 ; 4-byte Folded Spill
	buffer_store_dword v88, off, s[24:27], 0 offset:1240 ; 4-byte Folded Spill
	;; [unrolled: 1-line block ×3, first 2 shown]
	v_fma_f64 v[177:178], v[82:83], v[86:87], v[80:81]
	v_mul_u32_u24_sdwa v80, v233, s5 dst_sel:DWORD dst_unused:UNUSED_PAD src0_sel:WORD_0 src1_sel:DWORD
	v_lshrrev_b32_e32 v80, 21, v80
	v_mul_lo_u16_e32 v80, 60, v80
	v_sub_u16_e32 v233, v233, v80
	v_mul_lo_u16_e32 v80, 0x50, v233
	v_add_co_u32_e64 v80, s[0:1], s4, v80
	v_addc_co_u32_e64 v81, s[0:1], 0, v234, s[0:1]
	global_load_dwordx4 v[84:87], v[80:81], off offset:848
	global_load_dwordx4 v[88:91], v[80:81], off offset:832
	;; [unrolled: 1-line block ×4, first 2 shown]
	s_waitcnt vmcnt(0) lgkmcnt(10)
	v_mul_f64 v[82:83], v[78:79], v[98:99]
	v_fma_f64 v[152:153], v[76:77], v[96:97], -v[82:83]
	v_mul_f64 v[76:77], v[76:77], v[98:99]
	buffer_store_dword v96, off, s[24:27], 0 offset:1296 ; 4-byte Folded Spill
	s_nop 0
	buffer_store_dword v97, off, s[24:27], 0 offset:1300 ; 4-byte Folded Spill
	buffer_store_dword v98, off, s[24:27], 0 offset:1304 ; 4-byte Folded Spill
	buffer_store_dword v99, off, s[24:27], 0 offset:1308 ; 4-byte Folded Spill
	v_fma_f64 v[144:145], v[78:79], v[96:97], v[76:77]
	s_waitcnt lgkmcnt(9)
	v_mul_f64 v[76:77], v[74:75], v[94:95]
	v_fma_f64 v[158:159], v[72:73], v[92:93], -v[76:77]
	v_mul_f64 v[72:73], v[72:73], v[94:95]
	buffer_store_dword v92, off, s[24:27], 0 offset:1280 ; 4-byte Folded Spill
	s_nop 0
	buffer_store_dword v93, off, s[24:27], 0 offset:1284 ; 4-byte Folded Spill
	buffer_store_dword v94, off, s[24:27], 0 offset:1288 ; 4-byte Folded Spill
	buffer_store_dword v95, off, s[24:27], 0 offset:1292 ; 4-byte Folded Spill
	v_fma_f64 v[165:166], v[74:75], v[92:93], v[72:73]
	s_waitcnt lgkmcnt(8)
	;; [unrolled: 10-line block ×3, first 2 shown]
	v_mul_f64 v[68:69], v[66:67], v[86:87]
	v_fma_f64 v[167:168], v[64:65], v[84:85], -v[68:69]
	v_mul_f64 v[64:65], v[64:65], v[86:87]
	buffer_store_dword v84, off, s[24:27], 0 offset:1248 ; 4-byte Folded Spill
	s_nop 0
	buffer_store_dword v85, off, s[24:27], 0 offset:1252 ; 4-byte Folded Spill
	buffer_store_dword v86, off, s[24:27], 0 offset:1256 ; 4-byte Folded Spill
	;; [unrolled: 1-line block ×3, first 2 shown]
	v_fma_f64 v[169:170], v[66:67], v[84:85], v[64:65]
	global_load_dwordx4 v[66:69], v[80:81], off offset:864
	s_waitcnt vmcnt(0) lgkmcnt(6)
	v_mul_f64 v[64:65], v[62:63], v[68:69]
	v_fma_f64 v[156:157], v[60:61], v[66:67], -v[64:65]
	v_mul_f64 v[60:61], v[60:61], v[68:69]
	buffer_store_dword v66, off, s[24:27], 0 offset:1312 ; 4-byte Folded Spill
	s_nop 0
	buffer_store_dword v67, off, s[24:27], 0 offset:1316 ; 4-byte Folded Spill
	buffer_store_dword v68, off, s[24:27], 0 offset:1320 ; 4-byte Folded Spill
	;; [unrolled: 1-line block ×3, first 2 shown]
	v_fma_f64 v[163:164], v[62:63], v[66:67], v[60:61]
	v_mul_u32_u24_sdwa v60, v162, s5 dst_sel:DWORD dst_unused:UNUSED_PAD src0_sel:WORD_0 src1_sel:DWORD
	v_lshrrev_b32_e32 v60, 21, v60
	v_mul_lo_u16_e32 v60, 60, v60
	v_sub_u16_e32 v162, v162, v60
	v_mul_lo_u16_e32 v60, 0x50, v162
	v_add_co_u32_e64 v60, s[0:1], s4, v60
	v_addc_co_u32_e64 v61, s[0:1], 0, v234, s[0:1]
	global_load_dwordx4 v[64:67], v[60:61], off offset:848
	global_load_dwordx4 v[68:71], v[60:61], off offset:832
	;; [unrolled: 1-line block ×4, first 2 shown]
	s_movk_i32 s5, 0x15e0
	s_movk_i32 s4, 0x1000
	s_waitcnt vmcnt(0) lgkmcnt(4)
	v_mul_f64 v[62:63], v[58:59], v[78:79]
	v_fma_f64 v[128:129], v[56:57], v[76:77], -v[62:63]
	v_mul_f64 v[56:57], v[56:57], v[78:79]
	buffer_store_dword v76, off, s[24:27], 0 offset:1376 ; 4-byte Folded Spill
	s_nop 0
	buffer_store_dword v77, off, s[24:27], 0 offset:1380 ; 4-byte Folded Spill
	buffer_store_dword v78, off, s[24:27], 0 offset:1384 ; 4-byte Folded Spill
	buffer_store_dword v79, off, s[24:27], 0 offset:1388 ; 4-byte Folded Spill
	v_fma_f64 v[124:125], v[58:59], v[76:77], v[56:57]
	s_waitcnt lgkmcnt(3)
	v_mul_f64 v[56:57], v[54:55], v[74:75]
	v_fma_f64 v[136:137], v[52:53], v[72:73], -v[56:57]
	v_mul_f64 v[52:53], v[52:53], v[74:75]
	buffer_store_dword v72, off, s[24:27], 0 offset:1360 ; 4-byte Folded Spill
	s_nop 0
	buffer_store_dword v73, off, s[24:27], 0 offset:1364 ; 4-byte Folded Spill
	buffer_store_dword v74, off, s[24:27], 0 offset:1368 ; 4-byte Folded Spill
	buffer_store_dword v75, off, s[24:27], 0 offset:1372 ; 4-byte Folded Spill
	v_fma_f64 v[138:139], v[54:55], v[72:73], v[52:53]
	s_waitcnt lgkmcnt(2)
	;; [unrolled: 10-line block ×3, first 2 shown]
	v_mul_f64 v[48:49], v[46:47], v[66:67]
	v_fma_f64 v[140:141], v[44:45], v[64:65], -v[48:49]
	v_mul_f64 v[44:45], v[44:45], v[66:67]
	buffer_store_dword v64, off, s[24:27], 0 offset:1328 ; 4-byte Folded Spill
	s_nop 0
	buffer_store_dword v65, off, s[24:27], 0 offset:1332 ; 4-byte Folded Spill
	buffer_store_dword v66, off, s[24:27], 0 offset:1336 ; 4-byte Folded Spill
	;; [unrolled: 1-line block ×3, first 2 shown]
	v_fma_f64 v[142:143], v[46:47], v[64:65], v[44:45]
	global_load_dwordx4 v[46:49], v[60:61], off offset:864
	s_waitcnt vmcnt(0) lgkmcnt(0)
	v_mul_f64 v[44:45], v[42:43], v[48:49]
	v_fma_f64 v[132:133], v[40:41], v[46:47], -v[44:45]
	v_mul_f64 v[40:41], v[40:41], v[48:49]
	buffer_store_dword v46, off, s[24:27], 0 offset:1392 ; 4-byte Folded Spill
	s_nop 0
	buffer_store_dword v47, off, s[24:27], 0 offset:1396 ; 4-byte Folded Spill
	buffer_store_dword v48, off, s[24:27], 0 offset:1400 ; 4-byte Folded Spill
	;; [unrolled: 1-line block ×3, first 2 shown]
	s_waitcnt lgkmcnt(0)
	; wave barrier
	v_fma_f64 v[134:135], v[42:43], v[46:47], v[40:41]
	v_add_f64 v[40:41], v[36:37], v[219:220]
	v_add_f64 v[48:49], v[40:41], v[223:224]
	;; [unrolled: 1-line block ×3, first 2 shown]
	v_fma_f64 v[36:37], v[40:41], -0.5, v[36:37]
	v_add_f64 v[40:41], v[221:222], -v[225:226]
	v_fma_f64 v[50:51], v[40:41], s[14:15], v[36:37]
	v_fma_f64 v[54:55], v[40:41], s[12:13], v[36:37]
	v_add_f64 v[36:37], v[38:39], v[221:222]
	v_add_f64 v[40:41], v[213:214], -v[227:228]
	v_add_f64 v[58:59], v[36:37], v[225:226]
	v_add_f64 v[36:37], v[221:222], v[225:226]
	v_fma_f64 v[36:37], v[36:37], -0.5, v[38:39]
	v_add_f64 v[38:39], v[219:220], -v[223:224]
	v_fma_f64 v[60:61], v[38:39], s[12:13], v[36:37]
	v_fma_f64 v[62:63], v[38:39], s[14:15], v[36:37]
	v_add_f64 v[36:37], v[217:218], v[213:214]
	v_add_f64 v[38:39], v[215:216], -v[229:230]
	v_add_f64 v[52:53], v[36:37], v[227:228]
	v_add_f64 v[36:37], v[213:214], v[227:228]
	;; [unrolled: 1-line block ×3, first 2 shown]
	v_fma_f64 v[36:37], v[36:37], -0.5, v[217:218]
	v_fma_f64 v[42:43], v[38:39], s[14:15], v[36:37]
	v_fma_f64 v[38:39], v[38:39], s[12:13], v[36:37]
	v_add_f64 v[36:37], v[211:212], v[215:216]
	v_add_f64 v[64:65], v[36:37], v[229:230]
	;; [unrolled: 1-line block ×4, first 2 shown]
	v_fma_f64 v[36:37], v[36:37], -0.5, v[211:212]
	v_add_f64 v[58:59], v[58:59], -v[64:65]
	v_fma_f64 v[56:57], v[40:41], s[12:13], v[36:37]
	v_fma_f64 v[66:67], v[40:41], s[14:15], v[36:37]
	v_mul_f64 v[36:37], v[56:57], s[14:15]
	v_fma_f64 v[68:69], v[42:43], 0.5, v[36:37]
	v_mul_f64 v[36:37], v[38:39], -0.5
	v_mul_f64 v[42:43], v[42:43], s[12:13]
	v_add_f64 v[40:41], v[50:51], v[68:69]
	v_fma_f64 v[70:71], v[66:67], s[14:15], v[36:37]
	v_fma_f64 v[72:73], v[56:57], 0.5, v[42:43]
	v_mul_f64 v[56:57], v[66:67], -0.5
	v_add_f64 v[36:37], v[54:55], v[70:71]
	v_add_f64 v[42:43], v[60:61], v[72:73]
	v_fma_f64 v[66:67], v[38:39], s[12:13], v[56:57]
	v_add_f64 v[56:57], v[48:49], -v[52:53]
	v_add_f64 v[48:49], v[54:55], -v[70:71]
	v_add_f64 v[54:55], v[60:61], -v[72:73]
	v_add_f64 v[60:61], v[32:33], v[199:200]
	v_add_f64 v[52:53], v[50:51], -v[68:69]
	v_add_f64 v[38:39], v[62:63], v[66:67]
	v_add_f64 v[50:51], v[62:63], -v[66:67]
	v_add_f64 v[68:69], v[60:61], v[203:204]
	v_add_f64 v[60:61], v[199:200], v[203:204]
	v_fma_f64 v[32:33], v[60:61], -0.5, v[32:33]
	v_add_f64 v[60:61], v[201:202], -v[205:206]
	v_fma_f64 v[70:71], v[60:61], s[14:15], v[32:33]
	v_fma_f64 v[74:75], v[60:61], s[12:13], v[32:33]
	v_add_f64 v[32:33], v[34:35], v[201:202]
	v_add_f64 v[60:61], v[185:186], -v[191:192]
	v_add_f64 v[78:79], v[32:33], v[205:206]
	v_add_f64 v[32:33], v[201:202], v[205:206]
	v_fma_f64 v[32:33], v[32:33], -0.5, v[34:35]
	v_add_f64 v[34:35], v[199:200], -v[203:204]
	v_fma_f64 v[80:81], v[34:35], s[12:13], v[32:33]
	v_fma_f64 v[82:83], v[34:35], s[14:15], v[32:33]
	v_add_f64 v[32:33], v[193:194], v[185:186]
	v_add_f64 v[34:35], v[187:188], -v[197:198]
	v_add_f64 v[72:73], v[32:33], v[191:192]
	v_add_f64 v[32:33], v[185:186], v[191:192]
	v_lshlrev_b32_e32 v191, 4, v235
	v_add_f64 v[64:65], v[68:69], v[72:73]
	v_fma_f64 v[32:33], v[32:33], -0.5, v[193:194]
	v_fma_f64 v[62:63], v[34:35], s[14:15], v[32:33]
	v_fma_f64 v[34:35], v[34:35], s[12:13], v[32:33]
	v_add_f64 v[32:33], v[183:184], v[187:188]
	v_add_f64 v[84:85], v[32:33], v[197:198]
	;; [unrolled: 1-line block ×4, first 2 shown]
	v_fma_f64 v[32:33], v[32:33], -0.5, v[183:184]
	v_add_f64 v[78:79], v[78:79], -v[84:85]
	v_fma_f64 v[76:77], v[60:61], s[12:13], v[32:33]
	v_fma_f64 v[86:87], v[60:61], s[14:15], v[32:33]
	v_mul_f64 v[32:33], v[76:77], s[14:15]
	v_fma_f64 v[88:89], v[62:63], 0.5, v[32:33]
	v_mul_f64 v[32:33], v[34:35], -0.5
	v_mul_f64 v[62:63], v[62:63], s[12:13]
	v_add_f64 v[60:61], v[70:71], v[88:89]
	v_fma_f64 v[90:91], v[86:87], s[14:15], v[32:33]
	v_fma_f64 v[92:93], v[76:77], 0.5, v[62:63]
	v_mul_f64 v[76:77], v[86:87], -0.5
	v_add_f64 v[32:33], v[74:75], v[90:91]
	v_add_f64 v[62:63], v[80:81], v[92:93]
	v_fma_f64 v[86:87], v[34:35], s[12:13], v[76:77]
	v_add_f64 v[76:77], v[68:69], -v[72:73]
	v_add_f64 v[68:69], v[74:75], -v[90:91]
	;; [unrolled: 1-line block ×3, first 2 shown]
	v_add_f64 v[80:81], v[28:29], v[122:123]
	v_add_f64 v[72:73], v[70:71], -v[88:89]
	v_add_f64 v[34:35], v[82:83], v[86:87]
	v_add_f64 v[70:71], v[82:83], -v[86:87]
	ds_write_b128 v160, v[44:47]
	ds_write_b128 v160, v[40:43] offset:960
	ds_write_b128 v160, v[36:39] offset:1920
	;; [unrolled: 1-line block ×11, first 2 shown]
	v_add_f64 v[88:89], v[80:81], v[114:115]
	v_add_f64 v[80:81], v[122:123], v[114:115]
	v_fma_f64 v[28:29], v[80:81], -0.5, v[28:29]
	v_add_f64 v[80:81], v[118:119], -v[108:109]
	v_fma_f64 v[90:91], v[80:81], s[14:15], v[28:29]
	v_fma_f64 v[94:95], v[80:81], s[12:13], v[28:29]
	v_add_f64 v[28:29], v[30:31], v[118:119]
	v_add_f64 v[80:81], v[116:117], -v[207:208]
	v_add_f64 v[98:99], v[28:29], v[108:109]
	v_add_f64 v[28:29], v[118:119], v[108:109]
	v_fma_f64 v[28:29], v[28:29], -0.5, v[30:31]
	v_add_f64 v[30:31], v[122:123], -v[114:115]
	v_fma_f64 v[108:109], v[30:31], s[12:13], v[28:29]
	v_fma_f64 v[114:115], v[30:31], s[14:15], v[28:29]
	v_add_f64 v[28:29], v[171:172], v[116:117]
	v_add_f64 v[30:31], v[112:113], -v[209:210]
	v_add_f64 v[92:93], v[28:29], v[207:208]
	v_add_f64 v[28:29], v[116:117], v[207:208]
	;; [unrolled: 1-line block ×3, first 2 shown]
	v_fma_f64 v[28:29], v[28:29], -0.5, v[171:172]
	v_fma_f64 v[82:83], v[30:31], s[14:15], v[28:29]
	v_fma_f64 v[30:31], v[30:31], s[12:13], v[28:29]
	v_add_f64 v[28:29], v[120:121], v[112:113]
	v_add_f64 v[118:119], v[28:29], v[209:210]
	;; [unrolled: 1-line block ×4, first 2 shown]
	v_fma_f64 v[28:29], v[28:29], -0.5, v[120:121]
	v_add_f64 v[98:99], v[98:99], -v[118:119]
	v_fma_f64 v[96:97], v[80:81], s[12:13], v[28:29]
	v_fma_f64 v[112:113], v[80:81], s[14:15], v[28:29]
	v_mul_f64 v[28:29], v[96:97], s[14:15]
	v_fma_f64 v[116:117], v[82:83], 0.5, v[28:29]
	v_mul_f64 v[28:29], v[30:31], -0.5
	v_mul_f64 v[82:83], v[82:83], s[12:13]
	v_add_f64 v[80:81], v[90:91], v[116:117]
	v_fma_f64 v[120:121], v[112:113], s[14:15], v[28:29]
	v_fma_f64 v[122:123], v[96:97], 0.5, v[82:83]
	v_mul_f64 v[96:97], v[112:113], -0.5
	v_add_f64 v[28:29], v[94:95], v[120:121]
	v_add_f64 v[82:83], v[108:109], v[122:123]
	v_fma_f64 v[112:113], v[30:31], s[12:13], v[96:97]
	v_add_f64 v[96:97], v[88:89], -v[92:93]
	v_add_f64 v[88:89], v[94:95], -v[120:121]
	;; [unrolled: 1-line block ×3, first 2 shown]
	v_add_f64 v[108:109], v[24:25], v[179:180]
	v_add_f64 v[92:93], v[90:91], -v[116:117]
	v_add_f64 v[30:31], v[114:115], v[112:113]
	v_add_f64 v[90:91], v[114:115], -v[112:113]
	ds_write_b128 v191, v[84:87] offset:11520
	ds_write_b128 v191, v[80:83] offset:12480
	;; [unrolled: 1-line block ×6, first 2 shown]
	v_add_f64 v[112:113], v[108:109], v[189:190]
	v_add_f64 v[108:109], v[179:180], v[189:190]
	v_fma_f64 v[24:25], v[108:109], -0.5, v[24:25]
	v_add_f64 v[108:109], v[181:182], -v[195:196]
	v_fma_f64 v[114:115], v[108:109], s[14:15], v[24:25]
	v_fma_f64 v[118:119], v[108:109], s[12:13], v[24:25]
	v_add_f64 v[24:25], v[26:27], v[181:182]
	v_add_f64 v[122:123], v[24:25], v[195:196]
	;; [unrolled: 1-line block ×3, first 2 shown]
	v_fma_f64 v[24:25], v[24:25], -0.5, v[26:27]
	v_add_f64 v[26:27], v[179:180], -v[189:190]
	v_lshlrev_b32_e32 v190, 4, v232
	v_fma_f64 v[171:172], v[26:27], s[12:13], v[24:25]
	v_fma_f64 v[179:180], v[26:27], s[14:15], v[24:25]
	v_add_f64 v[24:25], v[106:107], v[110:111]
	v_add_f64 v[26:27], v[173:174], -v[177:178]
	v_add_f64 v[116:117], v[24:25], v[175:176]
	v_add_f64 v[24:25], v[110:111], v[175:176]
	;; [unrolled: 1-line block ×3, first 2 shown]
	v_fma_f64 v[24:25], v[24:25], -0.5, v[106:107]
	v_fma_f64 v[106:107], v[26:27], s[14:15], v[24:25]
	v_fma_f64 v[26:27], v[26:27], s[12:13], v[24:25]
	v_add_f64 v[24:25], v[104:105], v[173:174]
	v_add_f64 v[181:182], v[24:25], v[177:178]
	;; [unrolled: 1-line block ×3, first 2 shown]
	v_fma_f64 v[24:25], v[24:25], -0.5, v[104:105]
	v_add_f64 v[104:105], v[110:111], -v[175:176]
	v_add_f64 v[110:111], v[122:123], v[181:182]
	v_add_f64 v[122:123], v[122:123], -v[181:182]
	v_fma_f64 v[120:121], v[104:105], s[12:13], v[24:25]
	v_fma_f64 v[173:174], v[104:105], s[14:15], v[24:25]
	v_mul_f64 v[24:25], v[120:121], s[14:15]
	v_fma_f64 v[175:176], v[106:107], 0.5, v[24:25]
	v_mul_f64 v[106:107], v[106:107], s[12:13]
	v_mul_f64 v[24:25], v[26:27], -0.5
	v_add_f64 v[104:105], v[114:115], v[175:176]
	v_fma_f64 v[183:184], v[120:121], 0.5, v[106:107]
	v_mul_f64 v[120:121], v[173:174], -0.5
	v_fma_f64 v[177:178], v[173:174], s[14:15], v[24:25]
	v_add_f64 v[106:107], v[171:172], v[183:184]
	v_fma_f64 v[173:174], v[26:27], s[12:13], v[120:121]
	v_add_f64 v[120:121], v[112:113], -v[116:117]
	v_add_f64 v[116:117], v[114:115], -v[175:176]
	v_add_f64 v[24:25], v[118:119], v[177:178]
	v_add_f64 v[112:113], v[118:119], -v[177:178]
	v_add_f64 v[118:119], v[171:172], -v[183:184]
	v_add_f64 v[171:172], v[20:21], v[158:159]
	v_add_f64 v[26:27], v[179:180], v[173:174]
	v_add_f64 v[114:115], v[179:180], -v[173:174]
	v_add_f64 v[173:174], v[158:159], v[167:168]
	ds_write_b128 v190, v[108:111] offset:17280
	ds_write_b128 v190, v[104:107] offset:18240
	;; [unrolled: 1-line block ×6, first 2 shown]
	v_add_f64 v[171:172], v[171:172], v[167:168]
	v_lshlrev_b32_e32 v24, 4, v233
	v_fma_f64 v[20:21], v[173:174], -0.5, v[20:21]
	v_add_f64 v[173:174], v[165:166], -v[169:170]
	v_fma_f64 v[175:176], v[173:174], s[14:15], v[20:21]
	v_fma_f64 v[173:174], v[173:174], s[12:13], v[20:21]
	v_add_f64 v[20:21], v[22:23], v[165:166]
	v_add_f64 v[177:178], v[20:21], v[169:170]
	;; [unrolled: 1-line block ×3, first 2 shown]
	v_fma_f64 v[20:21], v[20:21], -0.5, v[22:23]
	v_add_f64 v[22:23], v[158:159], -v[167:168]
	v_fma_f64 v[165:166], v[22:23], s[12:13], v[20:21]
	v_fma_f64 v[169:170], v[22:23], s[14:15], v[20:21]
	v_add_f64 v[20:21], v[152:153], v[146:147]
	v_add_f64 v[22:23], v[154:155], -v[163:164]
	v_add_f64 v[158:159], v[20:21], v[156:157]
	v_add_f64 v[20:21], v[146:147], v[156:157]
	v_fma_f64 v[20:21], v[20:21], -0.5, v[152:153]
	v_fma_f64 v[167:168], v[22:23], s[14:15], v[20:21]
	v_fma_f64 v[179:180], v[22:23], s[12:13], v[20:21]
	v_add_f64 v[20:21], v[144:145], v[154:155]
	v_add_f64 v[22:23], v[146:147], -v[156:157]
	v_mul_f64 v[156:157], v[167:168], s[12:13]
	v_add_f64 v[181:182], v[20:21], v[163:164]
	v_add_f64 v[20:21], v[154:155], v[163:164]
	v_fma_f64 v[20:21], v[20:21], -0.5, v[144:145]
	v_fma_f64 v[146:147], v[22:23], s[12:13], v[20:21]
	v_fma_f64 v[154:155], v[22:23], s[14:15], v[20:21]
	v_add_f64 v[20:21], v[171:172], v[158:159]
	v_mul_f64 v[22:23], v[146:147], s[14:15]
	v_fma_f64 v[185:186], v[146:147], 0.5, v[156:157]
	v_add_f64 v[156:157], v[171:172], -v[158:159]
	v_add_f64 v[171:172], v[100:101], v[136:137]
	v_add_f64 v[158:159], v[177:178], -v[181:182]
	v_fma_f64 v[163:164], v[167:168], 0.5, v[22:23]
	v_mul_f64 v[22:23], v[179:180], -0.5
	v_add_f64 v[146:147], v[165:166], v[185:186]
	v_add_f64 v[171:172], v[171:172], v[140:141]
	v_add_f64 v[165:166], v[165:166], -v[185:186]
	v_add_f64 v[144:145], v[175:176], v[163:164]
	v_fma_f64 v[183:184], v[154:155], s[14:15], v[22:23]
	v_add_f64 v[163:164], v[175:176], -v[163:164]
	v_add_f64 v[22:23], v[177:178], v[181:182]
	v_mul_f64 v[154:155], v[154:155], -0.5
	v_add_f64 v[152:153], v[173:174], v[183:184]
	v_add_f64 v[167:168], v[173:174], -v[183:184]
	v_add_f64 v[173:174], v[136:137], v[140:141]
	v_fma_f64 v[179:180], v[179:180], s[12:13], v[154:155]
	v_fma_f64 v[100:101], v[173:174], -0.5, v[100:101]
	v_add_f64 v[173:174], v[138:139], -v[142:143]
	v_add_f64 v[154:155], v[169:170], v[179:180]
	v_add_f64 v[169:170], v[169:170], -v[179:180]
	ds_write_b128 v24, v[20:23] offset:23040
	ds_write_b128 v24, v[144:147] offset:24000
	;; [unrolled: 1-line block ×5, first 2 shown]
	v_fma_f64 v[175:176], v[173:174], s[14:15], v[100:101]
	v_fma_f64 v[173:174], v[173:174], s[12:13], v[100:101]
	v_add_f64 v[100:101], v[102:103], v[138:139]
	v_add_co_u32_e64 v166, s[0:1], s5, v150
	ds_write_b128 v24, v[167:170] offset:27840
	v_addc_co_u32_e64 v167, s[0:1], 0, v151, s[0:1]
	v_add_co_u32_e64 v150, s[0:1], s4, v150
	v_add_f64 v[177:178], v[100:101], v[142:143]
	v_add_f64 v[100:101], v[138:139], v[142:143]
	v_lshlrev_b32_e32 v20, 4, v162
	v_addc_co_u32_e64 v151, s[0:1], 0, v151, s[0:1]
	buffer_store_dword v24, off, s[24:27], 0 offset:1412 ; 4-byte Folded Spill
	v_mad_u64_u32 v[200:201], s[0:1], v231, s16, v[148:149]
	s_movk_i32 s16, 0x2000
	v_fma_f64 v[100:101], v[100:101], -0.5, v[102:103]
	v_add_f64 v[102:103], v[136:137], -v[140:141]
	v_fma_f64 v[138:139], v[102:103], s[12:13], v[100:101]
	v_fma_f64 v[142:143], v[102:103], s[14:15], v[100:101]
	v_add_f64 v[100:101], v[128:129], v[126:127]
	v_add_f64 v[102:103], v[130:131], -v[134:135]
	v_add_f64 v[136:137], v[100:101], v[132:133]
	v_add_f64 v[100:101], v[126:127], v[132:133]
	v_fma_f64 v[100:101], v[100:101], -0.5, v[128:129]
	v_fma_f64 v[140:141], v[102:103], s[14:15], v[100:101]
	v_fma_f64 v[179:180], v[102:103], s[12:13], v[100:101]
	v_add_f64 v[100:101], v[124:125], v[130:131]
	v_add_f64 v[102:103], v[126:127], -v[132:133]
	v_mul_f64 v[132:133], v[140:141], s[12:13]
	v_add_f64 v[181:182], v[100:101], v[134:135]
	v_add_f64 v[100:101], v[130:131], v[134:135]
	v_fma_f64 v[100:101], v[100:101], -0.5, v[124:125]
	v_fma_f64 v[126:127], v[102:103], s[12:13], v[100:101]
	v_fma_f64 v[130:131], v[102:103], s[14:15], v[100:101]
	v_add_f64 v[100:101], v[171:172], v[136:137]
	v_mul_f64 v[102:103], v[126:127], s[14:15]
	v_fma_f64 v[185:186], v[126:127], 0.5, v[132:133]
	v_add_f64 v[132:133], v[171:172], -v[136:137]
	v_fma_f64 v[134:135], v[140:141], 0.5, v[102:103]
	v_mul_f64 v[102:103], v[179:180], -0.5
	v_add_f64 v[126:127], v[138:139], v[185:186]
	v_add_f64 v[138:139], v[138:139], -v[185:186]
	v_add_f64 v[124:125], v[175:176], v[134:135]
	v_fma_f64 v[183:184], v[130:131], s[14:15], v[102:103]
	v_mul_f64 v[130:131], v[130:131], -0.5
	v_add_f64 v[102:103], v[177:178], v[181:182]
	v_add_f64 v[136:137], v[175:176], -v[134:135]
	v_add_f64 v[134:135], v[177:178], -v[181:182]
	;; [unrolled: 1-line block ×3, first 2 shown]
	v_fma_f64 v[179:180], v[179:180], s[12:13], v[130:131]
	v_add_f64 v[128:129], v[173:174], v[183:184]
	v_add_f64 v[130:131], v[142:143], v[179:180]
	v_add_f64 v[142:143], v[142:143], -v[179:180]
	ds_write_b128 v20, v[100:103] offset:28800
	ds_write_b128 v20, v[124:127] offset:29760
	;; [unrolled: 1-line block ×5, first 2 shown]
	buffer_store_dword v20, off, s[24:27], 0 offset:1408 ; 4-byte Folded Spill
	ds_write_b128 v20, v[140:143] offset:33600
	s_waitcnt lgkmcnt(0)
	; wave barrier
	s_waitcnt lgkmcnt(0)
	ds_read_b128 v[36:39], v160
	ds_read_b128 v[128:131], v160 offset:5760
	ds_read_b128 v[132:135], v160 offset:11520
	;; [unrolled: 1-line block ×35, first 2 shown]
	global_load_dwordx4 v[168:171], v[150:151], off offset:1504
	global_load_dwordx4 v[178:181], v[166:167], off offset:48
	;; [unrolled: 1-line block ×4, first 2 shown]
	s_waitcnt vmcnt(3) lgkmcnt(14)
	v_mul_f64 v[166:167], v[130:131], v[170:171]
	v_fma_f64 v[172:173], v[128:129], v[168:169], -v[166:167]
	v_mul_f64 v[128:129], v[128:129], v[170:171]
	buffer_store_dword v168, off, s[24:27], 0 offset:1464 ; 4-byte Folded Spill
	s_nop 0
	buffer_store_dword v169, off, s[24:27], 0 offset:1468 ; 4-byte Folded Spill
	buffer_store_dword v170, off, s[24:27], 0 offset:1472 ; 4-byte Folded Spill
	buffer_store_dword v171, off, s[24:27], 0 offset:1476 ; 4-byte Folded Spill
	v_fma_f64 v[170:171], v[130:131], v[168:169], v[128:129]
	s_waitcnt vmcnt(4)
	v_mul_f64 v[128:129], v[134:135], v[176:177]
	v_fma_f64 v[182:183], v[132:133], v[174:175], -v[128:129]
	v_mul_f64 v[128:129], v[132:133], v[176:177]
	buffer_store_dword v174, off, s[24:27], 0 offset:1448 ; 4-byte Folded Spill
	s_nop 0
	buffer_store_dword v175, off, s[24:27], 0 offset:1452 ; 4-byte Folded Spill
	buffer_store_dword v176, off, s[24:27], 0 offset:1456 ; 4-byte Folded Spill
	;; [unrolled: 1-line block ×3, first 2 shown]
	v_fma_f64 v[184:185], v[134:135], v[174:175], v[128:129]
	v_mul_f64 v[128:129], v[154:155], v[188:189]
	v_fma_f64 v[174:175], v[152:153], v[186:187], -v[128:129]
	v_mul_f64 v[128:129], v[152:153], v[188:189]
	buffer_store_dword v186, off, s[24:27], 0 offset:1432 ; 4-byte Folded Spill
	s_nop 0
	buffer_store_dword v187, off, s[24:27], 0 offset:1436 ; 4-byte Folded Spill
	buffer_store_dword v188, off, s[24:27], 0 offset:1440 ; 4-byte Folded Spill
	;; [unrolled: 1-line block ×3, first 2 shown]
	v_fma_f64 v[176:177], v[154:155], v[186:187], v[128:129]
	v_mul_f64 v[128:129], v[158:159], v[180:181]
	v_fma_f64 v[186:187], v[156:157], v[178:179], -v[128:129]
	v_mul_f64 v[128:129], v[156:157], v[180:181]
	buffer_store_dword v178, off, s[24:27], 0 offset:1416 ; 4-byte Folded Spill
	s_nop 0
	buffer_store_dword v179, off, s[24:27], 0 offset:1420 ; 4-byte Folded Spill
	buffer_store_dword v180, off, s[24:27], 0 offset:1424 ; 4-byte Folded Spill
	;; [unrolled: 1-line block ×3, first 2 shown]
	global_load_dwordx4 v[130:133], v[150:151], off offset:1568
	v_fma_f64 v[188:189], v[158:159], v[178:179], v[128:129]
	s_waitcnt vmcnt(0)
	v_mul_f64 v[128:129], v[164:165], v[132:133]
	v_fma_f64 v[178:179], v[162:163], v[130:131], -v[128:129]
	v_mul_f64 v[128:129], v[162:163], v[132:133]
	buffer_store_dword v130, off, s[24:27], 0 offset:1480 ; 4-byte Folded Spill
	s_nop 0
	buffer_store_dword v131, off, s[24:27], 0 offset:1484 ; 4-byte Folded Spill
	buffer_store_dword v132, off, s[24:27], 0 offset:1488 ; 4-byte Folded Spill
	;; [unrolled: 1-line block ×3, first 2 shown]
	v_fma_f64 v[180:181], v[164:165], v[130:131], v[128:129]
	v_add_co_u32_e64 v128, s[0:1], s5, v200
	v_addc_co_u32_e64 v129, s[0:1], 0, v201, s[0:1]
	v_add_co_u32_e64 v132, s[0:1], s4, v200
	v_addc_co_u32_e64 v133, s[0:1], 0, v201, s[0:1]
	global_load_dwordx4 v[166:169], v[132:133], off offset:1504
	global_load_dwordx4 v[162:165], v[128:129], off offset:48
	global_load_dwordx4 v[154:157], v[128:129], off offset:32
	global_load_dwordx4 v[148:151], v[128:129], off offset:16
	s_movk_i32 s0, 0x28a0
	s_movk_i32 s5, 0x6000
	s_waitcnt vmcnt(3)
	v_mul_f64 v[128:129], v[146:147], v[168:169]
	s_waitcnt vmcnt(1)
	v_mul_f64 v[130:131], v[138:139], v[156:157]
	v_fma_f64 v[152:153], v[144:145], v[166:167], -v[128:129]
	v_mul_f64 v[128:129], v[144:145], v[168:169]
	buffer_store_dword v166, off, s[24:27], 0 offset:1544 ; 4-byte Folded Spill
	s_nop 0
	buffer_store_dword v167, off, s[24:27], 0 offset:1548 ; 4-byte Folded Spill
	buffer_store_dword v168, off, s[24:27], 0 offset:1552 ; 4-byte Folded Spill
	;; [unrolled: 1-line block ×3, first 2 shown]
	v_fma_f64 v[144:145], v[146:147], v[166:167], v[128:129]
	s_waitcnt vmcnt(4)
	v_mul_f64 v[128:129], v[142:143], v[150:151]
	v_fma_f64 v[158:159], v[140:141], v[148:149], -v[128:129]
	v_mul_f64 v[128:129], v[140:141], v[150:151]
	buffer_store_dword v148, off, s[24:27], 0 offset:1528 ; 4-byte Folded Spill
	s_nop 0
	buffer_store_dword v149, off, s[24:27], 0 offset:1532 ; 4-byte Folded Spill
	buffer_store_dword v150, off, s[24:27], 0 offset:1536 ; 4-byte Folded Spill
	;; [unrolled: 1-line block ×3, first 2 shown]
	v_fma_f64 v[128:129], v[142:143], v[148:149], v[128:129]
	v_fma_f64 v[148:149], v[136:137], v[154:155], -v[130:131]
	v_mul_f64 v[130:131], v[136:137], v[156:157]
	buffer_store_dword v154, off, s[24:27], 0 offset:1512 ; 4-byte Folded Spill
	s_nop 0
	buffer_store_dword v155, off, s[24:27], 0 offset:1516 ; 4-byte Folded Spill
	buffer_store_dword v156, off, s[24:27], 0 offset:1520 ; 4-byte Folded Spill
	;; [unrolled: 1-line block ×3, first 2 shown]
	v_fma_f64 v[154:155], v[138:139], v[154:155], v[130:131]
	v_mul_f64 v[130:131], v[126:127], v[164:165]
	v_fma_f64 v[130:131], v[124:125], v[162:163], -v[130:131]
	v_mul_f64 v[124:125], v[124:125], v[164:165]
	buffer_store_dword v162, off, s[24:27], 0 offset:1496 ; 4-byte Folded Spill
	s_nop 0
	buffer_store_dword v163, off, s[24:27], 0 offset:1500 ; 4-byte Folded Spill
	buffer_store_dword v164, off, s[24:27], 0 offset:1504 ; 4-byte Folded Spill
	;; [unrolled: 1-line block ×3, first 2 shown]
	global_load_dwordx4 v[132:135], v[132:133], off offset:1568
	v_fma_f64 v[164:165], v[126:127], v[162:163], v[124:125]
	s_waitcnt vmcnt(0)
	v_mul_f64 v[124:125], v[122:123], v[134:135]
	v_fma_f64 v[166:167], v[120:121], v[132:133], -v[124:125]
	v_mul_f64 v[120:121], v[120:121], v[134:135]
	buffer_store_dword v132, off, s[24:27], 0 offset:1560 ; 4-byte Folded Spill
	s_nop 0
	buffer_store_dword v133, off, s[24:27], 0 offset:1564 ; 4-byte Folded Spill
	buffer_store_dword v134, off, s[24:27], 0 offset:1568 ; 4-byte Folded Spill
	buffer_store_dword v135, off, s[24:27], 0 offset:1572 ; 4-byte Folded Spill
	v_fma_f64 v[168:169], v[122:123], v[132:133], v[120:121]
	v_add_co_u32_e64 v120, s[0:1], s0, v200
	v_addc_co_u32_e64 v121, s[0:1], 0, v201, s[0:1]
	v_add_co_u32_e64 v122, s[0:1], s16, v200
	v_addc_co_u32_e64 v123, s[0:1], 0, v201, s[0:1]
	global_load_dwordx4 v[140:143], v[122:123], off offset:2208
	global_load_dwordx4 v[124:127], v[120:121], off offset:48
	;; [unrolled: 1-line block ×4, first 2 shown]
	s_movk_i32 s0, 0x3b60
	s_waitcnt vmcnt(3)
	v_mul_f64 v[120:121], v[118:119], v[142:143]
	v_fma_f64 v[134:135], v[116:117], v[140:141], -v[120:121]
	v_mul_f64 v[116:117], v[116:117], v[142:143]
	buffer_store_dword v140, off, s[24:27], 0 offset:1624 ; 4-byte Folded Spill
	s_nop 0
	buffer_store_dword v141, off, s[24:27], 0 offset:1628 ; 4-byte Folded Spill
	buffer_store_dword v142, off, s[24:27], 0 offset:1632 ; 4-byte Folded Spill
	;; [unrolled: 1-line block ×3, first 2 shown]
	v_fma_f64 v[162:163], v[118:119], v[140:141], v[116:117]
	s_waitcnt vmcnt(4)
	v_mul_f64 v[116:117], v[114:115], v[194:195]
	v_fma_f64 v[142:143], v[112:113], v[192:193], -v[116:117]
	v_mul_f64 v[112:113], v[112:113], v[194:195]
	buffer_store_dword v192, off, s[24:27], 0 offset:1608 ; 4-byte Folded Spill
	s_nop 0
	buffer_store_dword v193, off, s[24:27], 0 offset:1612 ; 4-byte Folded Spill
	buffer_store_dword v194, off, s[24:27], 0 offset:1616 ; 4-byte Folded Spill
	buffer_store_dword v195, off, s[24:27], 0 offset:1620 ; 4-byte Folded Spill
	v_fma_f64 v[146:147], v[114:115], v[192:193], v[112:113]
	v_mul_f64 v[112:113], v[110:111], v[138:139]
	v_fma_f64 v[132:133], v[108:109], v[136:137], -v[112:113]
	v_mul_f64 v[108:109], v[108:109], v[138:139]
	buffer_store_dword v136, off, s[24:27], 0 offset:1592 ; 4-byte Folded Spill
	s_nop 0
	buffer_store_dword v137, off, s[24:27], 0 offset:1596 ; 4-byte Folded Spill
	buffer_store_dword v138, off, s[24:27], 0 offset:1600 ; 4-byte Folded Spill
	buffer_store_dword v139, off, s[24:27], 0 offset:1604 ; 4-byte Folded Spill
	v_fma_f64 v[136:137], v[110:111], v[136:137], v[108:109]
	;; [unrolled: 9-line block ×3, first 2 shown]
	global_load_dwordx4 v[106:109], v[122:123], off offset:2272
	s_waitcnt vmcnt(0)
	v_mul_f64 v[104:105], v[102:103], v[108:109]
	v_fma_f64 v[138:139], v[100:101], v[106:107], -v[104:105]
	v_mul_f64 v[100:101], v[100:101], v[108:109]
	buffer_store_dword v106, off, s[24:27], 0 offset:1640 ; 4-byte Folded Spill
	s_nop 0
	buffer_store_dword v107, off, s[24:27], 0 offset:1644 ; 4-byte Folded Spill
	buffer_store_dword v108, off, s[24:27], 0 offset:1648 ; 4-byte Folded Spill
	;; [unrolled: 1-line block ×3, first 2 shown]
	v_fma_f64 v[140:141], v[102:103], v[106:107], v[100:101]
	v_add_co_u32_e64 v100, s[0:1], s0, v200
	v_addc_co_u32_e64 v101, s[0:1], 0, v201, s[0:1]
	v_add_co_u32_e64 v116, s[0:1], s17, v200
	v_addc_co_u32_e64 v117, s[0:1], 0, v201, s[0:1]
	global_load_dwordx4 v[106:109], v[116:117], off offset:2912
	global_load_dwordx4 v[118:121], v[100:101], off offset:48
	;; [unrolled: 1-line block ×4, first 2 shown]
	s_movk_i32 s0, 0x4e20
	s_waitcnt vmcnt(3)
	v_mul_f64 v[100:101], v[98:99], v[108:109]
	v_fma_f64 v[104:105], v[96:97], v[106:107], -v[100:101]
	v_mul_f64 v[96:97], v[96:97], v[108:109]
	buffer_store_dword v106, off, s[24:27], 0 offset:1704 ; 4-byte Folded Spill
	s_nop 0
	buffer_store_dword v107, off, s[24:27], 0 offset:1708 ; 4-byte Folded Spill
	buffer_store_dword v108, off, s[24:27], 0 offset:1712 ; 4-byte Folded Spill
	;; [unrolled: 1-line block ×3, first 2 shown]
	v_fma_f64 v[100:101], v[98:99], v[106:107], v[96:97]
	s_waitcnt vmcnt(4)
	v_mul_f64 v[96:97], v[94:95], v[124:125]
	v_fma_f64 v[108:109], v[92:93], v[122:123], -v[96:97]
	v_mul_f64 v[92:93], v[92:93], v[124:125]
	buffer_store_dword v122, off, s[24:27], 0 offset:1688 ; 4-byte Folded Spill
	s_nop 0
	buffer_store_dword v123, off, s[24:27], 0 offset:1692 ; 4-byte Folded Spill
	buffer_store_dword v124, off, s[24:27], 0 offset:1696 ; 4-byte Folded Spill
	;; [unrolled: 1-line block ×3, first 2 shown]
	v_fma_f64 v[110:111], v[94:95], v[122:123], v[92:93]
	v_mul_f64 v[92:93], v[90:91], v[114:115]
	v_fma_f64 v[102:103], v[88:89], v[112:113], -v[92:93]
	v_mul_f64 v[88:89], v[88:89], v[114:115]
	buffer_store_dword v112, off, s[24:27], 0 offset:1672 ; 4-byte Folded Spill
	s_nop 0
	buffer_store_dword v113, off, s[24:27], 0 offset:1676 ; 4-byte Folded Spill
	buffer_store_dword v114, off, s[24:27], 0 offset:1680 ; 4-byte Folded Spill
	;; [unrolled: 1-line block ×3, first 2 shown]
	v_fma_f64 v[106:107], v[90:91], v[112:113], v[88:89]
	s_waitcnt lgkmcnt(13)
	v_mul_f64 v[88:89], v[86:87], v[120:121]
	v_fma_f64 v[112:113], v[84:85], v[118:119], -v[88:89]
	v_mul_f64 v[84:85], v[84:85], v[120:121]
	buffer_store_dword v118, off, s[24:27], 0 offset:1656 ; 4-byte Folded Spill
	s_nop 0
	buffer_store_dword v119, off, s[24:27], 0 offset:1660 ; 4-byte Folded Spill
	buffer_store_dword v120, off, s[24:27], 0 offset:1664 ; 4-byte Folded Spill
	;; [unrolled: 1-line block ×3, first 2 shown]
	v_fma_f64 v[114:115], v[86:87], v[118:119], v[84:85]
	global_load_dwordx4 v[86:89], v[116:117], off offset:2976
	s_waitcnt vmcnt(0) lgkmcnt(12)
	v_mul_f64 v[84:85], v[82:83], v[88:89]
	v_fma_f64 v[116:117], v[80:81], v[86:87], -v[84:85]
	v_mul_f64 v[80:81], v[80:81], v[88:89]
	buffer_store_dword v86, off, s[24:27], 0 offset:1720 ; 4-byte Folded Spill
	s_nop 0
	buffer_store_dword v87, off, s[24:27], 0 offset:1724 ; 4-byte Folded Spill
	buffer_store_dword v88, off, s[24:27], 0 offset:1728 ; 4-byte Folded Spill
	buffer_store_dword v89, off, s[24:27], 0 offset:1732 ; 4-byte Folded Spill
	v_fma_f64 v[118:119], v[82:83], v[86:87], v[80:81]
	v_add_co_u32_e64 v80, s[0:1], s0, v200
	v_addc_co_u32_e64 v81, s[0:1], 0, v201, s[0:1]
	v_add_co_u32_e64 v82, s[0:1], s18, v200
	v_addc_co_u32_e64 v83, s[0:1], 0, v201, s[0:1]
	global_load_dwordx4 v[192:195], v[82:83], off offset:3616
	global_load_dwordx4 v[84:87], v[80:81], off offset:48
	;; [unrolled: 1-line block ×4, first 2 shown]
	s_movk_i32 s0, 0x60e0
	s_waitcnt vmcnt(3) lgkmcnt(10)
	v_mul_f64 v[80:81], v[78:79], v[194:195]
	v_fma_f64 v[240:241], v[76:77], v[192:193], -v[80:81]
	v_mul_f64 v[76:77], v[76:77], v[194:195]
	v_fma_f64 v[236:237], v[78:79], v[192:193], v[76:77]
	s_waitcnt vmcnt(0) lgkmcnt(9)
	v_mul_f64 v[76:77], v[74:75], v[94:95]
	v_fma_f64 v[248:249], v[72:73], v[92:93], -v[76:77]
	v_mul_f64 v[72:73], v[72:73], v[94:95]
	buffer_store_dword v92, off, s[24:27], 0 offset:1768 ; 4-byte Folded Spill
	s_nop 0
	buffer_store_dword v93, off, s[24:27], 0 offset:1772 ; 4-byte Folded Spill
	buffer_store_dword v94, off, s[24:27], 0 offset:1776 ; 4-byte Folded Spill
	;; [unrolled: 1-line block ×3, first 2 shown]
	v_fma_f64 v[250:251], v[74:75], v[92:93], v[72:73]
	s_waitcnt lgkmcnt(8)
	v_mul_f64 v[72:73], v[70:71], v[90:91]
	v_fma_f64 v[238:239], v[68:69], v[88:89], -v[72:73]
	v_mul_f64 v[68:69], v[68:69], v[90:91]
	buffer_store_dword v88, off, s[24:27], 0 offset:1752 ; 4-byte Folded Spill
	s_nop 0
	buffer_store_dword v89, off, s[24:27], 0 offset:1756 ; 4-byte Folded Spill
	buffer_store_dword v90, off, s[24:27], 0 offset:1760 ; 4-byte Folded Spill
	;; [unrolled: 1-line block ×3, first 2 shown]
	v_fma_f64 v[242:243], v[70:71], v[88:89], v[68:69]
	s_waitcnt lgkmcnt(7)
	v_mul_f64 v[68:69], v[66:67], v[86:87]
	v_fma_f64 v[252:253], v[64:65], v[84:85], -v[68:69]
	v_mul_f64 v[64:65], v[64:65], v[86:87]
	buffer_store_dword v84, off, s[24:27], 0 offset:1736 ; 4-byte Folded Spill
	s_nop 0
	buffer_store_dword v85, off, s[24:27], 0 offset:1740 ; 4-byte Folded Spill
	buffer_store_dword v86, off, s[24:27], 0 offset:1744 ; 4-byte Folded Spill
	;; [unrolled: 1-line block ×3, first 2 shown]
	global_load_dwordx4 v[196:199], v[82:83], off offset:3680
	v_fma_f64 v[254:255], v[66:67], v[84:85], v[64:65]
	s_waitcnt vmcnt(0) lgkmcnt(6)
	v_mul_f64 v[64:65], v[62:63], v[198:199]
	v_fma_f64 v[244:245], v[60:61], v[196:197], -v[64:65]
	v_mul_f64 v[60:61], v[60:61], v[198:199]
	v_fma_f64 v[246:247], v[62:63], v[196:197], v[60:61]
	v_add_co_u32_e64 v60, s[0:1], s0, v200
	v_addc_co_u32_e64 v61, s[0:1], 0, v201, s[0:1]
	v_add_co_u32_e64 v62, s[0:1], s5, v200
	v_addc_co_u32_e64 v63, s[0:1], 0, v201, s[0:1]
	global_load_dwordx4 v[212:215], v[62:63], off offset:224
	global_load_dwordx4 v[200:203], v[60:61], off offset:48
	;; [unrolled: 1-line block ×5, first 2 shown]
	s_waitcnt vmcnt(4) lgkmcnt(4)
	v_mul_f64 v[60:61], v[58:59], v[214:215]
	v_fma_f64 v[124:125], v[56:57], v[212:213], -v[60:61]
	v_mul_f64 v[56:57], v[56:57], v[214:215]
	v_fma_f64 v[120:121], v[58:59], v[212:213], v[56:57]
	s_waitcnt vmcnt(1) lgkmcnt(3)
	v_mul_f64 v[56:57], v[54:55], v[210:211]
	v_fma_f64 v[224:225], v[52:53], v[208:209], -v[56:57]
	v_mul_f64 v[52:53], v[52:53], v[210:211]
	v_fma_f64 v[226:227], v[54:55], v[208:209], v[52:53]
	s_waitcnt lgkmcnt(2)
	v_mul_f64 v[52:53], v[50:51], v[206:207]
	v_fma_f64 v[122:123], v[48:49], v[204:205], -v[52:53]
	v_mul_f64 v[48:49], v[48:49], v[206:207]
	v_fma_f64 v[126:127], v[50:51], v[204:205], v[48:49]
	s_waitcnt lgkmcnt(1)
	v_mul_f64 v[48:49], v[46:47], v[202:203]
	v_fma_f64 v[228:229], v[44:45], v[200:201], -v[48:49]
	v_mul_f64 v[44:45], v[44:45], v[202:203]
	v_fma_f64 v[230:231], v[46:47], v[200:201], v[44:45]
	s_waitcnt vmcnt(0) lgkmcnt(0)
	v_mul_f64 v[44:45], v[42:43], v[218:219]
	v_fma_f64 v[232:233], v[40:41], v[216:217], -v[44:45]
	v_mul_f64 v[40:41], v[40:41], v[218:219]
	v_fma_f64 v[234:235], v[42:43], v[216:217], v[40:41]
	v_add_f64 v[40:41], v[36:37], v[182:183]
	v_add_f64 v[48:49], v[40:41], v[186:187]
	;; [unrolled: 1-line block ×3, first 2 shown]
	v_fma_f64 v[36:37], v[40:41], -0.5, v[36:37]
	v_add_f64 v[40:41], v[184:185], -v[188:189]
	v_fma_f64 v[50:51], v[40:41], s[14:15], v[36:37]
	v_fma_f64 v[54:55], v[40:41], s[12:13], v[36:37]
	v_add_f64 v[36:37], v[38:39], v[184:185]
	v_add_f64 v[40:41], v[174:175], -v[178:179]
	v_add_f64 v[58:59], v[36:37], v[188:189]
	v_add_f64 v[36:37], v[184:185], v[188:189]
	v_fma_f64 v[36:37], v[36:37], -0.5, v[38:39]
	v_add_f64 v[38:39], v[182:183], -v[186:187]
	v_fma_f64 v[60:61], v[38:39], s[12:13], v[36:37]
	v_fma_f64 v[62:63], v[38:39], s[14:15], v[36:37]
	v_add_f64 v[36:37], v[172:173], v[174:175]
	v_add_f64 v[38:39], v[176:177], -v[180:181]
	v_add_f64 v[52:53], v[36:37], v[178:179]
	v_add_f64 v[36:37], v[174:175], v[178:179]
	;; [unrolled: 1-line block ×3, first 2 shown]
	v_fma_f64 v[36:37], v[36:37], -0.5, v[172:173]
	v_fma_f64 v[42:43], v[38:39], s[14:15], v[36:37]
	v_fma_f64 v[38:39], v[38:39], s[12:13], v[36:37]
	v_add_f64 v[36:37], v[170:171], v[176:177]
	v_add_f64 v[64:65], v[36:37], v[180:181]
	;; [unrolled: 1-line block ×4, first 2 shown]
	v_fma_f64 v[36:37], v[36:37], -0.5, v[170:171]
	v_add_f64 v[58:59], v[58:59], -v[64:65]
	v_fma_f64 v[56:57], v[40:41], s[12:13], v[36:37]
	v_fma_f64 v[66:67], v[40:41], s[14:15], v[36:37]
	v_mul_f64 v[36:37], v[56:57], s[14:15]
	v_fma_f64 v[68:69], v[42:43], 0.5, v[36:37]
	v_mul_f64 v[36:37], v[38:39], -0.5
	v_mul_f64 v[42:43], v[42:43], s[12:13]
	v_add_f64 v[40:41], v[50:51], v[68:69]
	v_fma_f64 v[70:71], v[66:67], s[14:15], v[36:37]
	v_fma_f64 v[72:73], v[56:57], 0.5, v[42:43]
	v_mul_f64 v[56:57], v[66:67], -0.5
	v_add_f64 v[36:37], v[54:55], v[70:71]
	v_add_f64 v[42:43], v[60:61], v[72:73]
	v_fma_f64 v[66:67], v[38:39], s[12:13], v[56:57]
	v_add_f64 v[56:57], v[48:49], -v[52:53]
	v_add_f64 v[48:49], v[54:55], -v[70:71]
	;; [unrolled: 1-line block ×3, first 2 shown]
	v_add_f64 v[60:61], v[32:33], v[158:159]
	v_add_f64 v[52:53], v[50:51], -v[68:69]
	v_add_f64 v[38:39], v[62:63], v[66:67]
	v_add_f64 v[50:51], v[62:63], -v[66:67]
	v_add_f64 v[68:69], v[60:61], v[130:131]
	v_add_f64 v[60:61], v[158:159], v[130:131]
	v_fma_f64 v[32:33], v[60:61], -0.5, v[32:33]
	v_add_f64 v[60:61], v[128:129], -v[164:165]
	v_fma_f64 v[70:71], v[60:61], s[14:15], v[32:33]
	v_fma_f64 v[74:75], v[60:61], s[12:13], v[32:33]
	v_add_f64 v[32:33], v[34:35], v[128:129]
	v_add_f64 v[60:61], v[148:149], -v[166:167]
	v_add_f64 v[78:79], v[32:33], v[164:165]
	v_add_f64 v[32:33], v[128:129], v[164:165]
	;; [unrolled: 1-line block ×3, first 2 shown]
	v_fma_f64 v[32:33], v[32:33], -0.5, v[34:35]
	v_add_f64 v[34:35], v[158:159], -v[130:131]
	v_fma_f64 v[80:81], v[34:35], s[12:13], v[32:33]
	v_fma_f64 v[82:83], v[34:35], s[14:15], v[32:33]
	v_add_f64 v[32:33], v[152:153], v[148:149]
	v_add_f64 v[34:35], v[154:155], -v[168:169]
	v_add_f64 v[72:73], v[32:33], v[166:167]
	v_add_f64 v[32:33], v[148:149], v[166:167]
	;; [unrolled: 1-line block ×3, first 2 shown]
	v_fma_f64 v[32:33], v[32:33], -0.5, v[152:153]
	v_fma_f64 v[62:63], v[34:35], s[14:15], v[32:33]
	v_fma_f64 v[34:35], v[34:35], s[12:13], v[32:33]
	v_add_f64 v[32:33], v[144:145], v[154:155]
	v_add_f64 v[84:85], v[32:33], v[168:169]
	;; [unrolled: 1-line block ×4, first 2 shown]
	v_fma_f64 v[32:33], v[32:33], -0.5, v[144:145]
	v_add_f64 v[78:79], v[78:79], -v[84:85]
	v_fma_f64 v[76:77], v[60:61], s[12:13], v[32:33]
	v_fma_f64 v[86:87], v[60:61], s[14:15], v[32:33]
	v_mul_f64 v[32:33], v[76:77], s[14:15]
	v_fma_f64 v[88:89], v[62:63], 0.5, v[32:33]
	v_mul_f64 v[32:33], v[34:35], -0.5
	v_mul_f64 v[62:63], v[62:63], s[12:13]
	v_add_f64 v[60:61], v[70:71], v[88:89]
	v_fma_f64 v[90:91], v[86:87], s[14:15], v[32:33]
	v_fma_f64 v[92:93], v[76:77], 0.5, v[62:63]
	v_mul_f64 v[76:77], v[86:87], -0.5
	v_add_f64 v[32:33], v[74:75], v[90:91]
	v_add_f64 v[62:63], v[80:81], v[92:93]
	v_fma_f64 v[86:87], v[34:35], s[12:13], v[76:77]
	v_add_f64 v[76:77], v[68:69], -v[72:73]
	v_add_f64 v[68:69], v[74:75], -v[90:91]
	;; [unrolled: 1-line block ×3, first 2 shown]
	v_add_f64 v[80:81], v[28:29], v[142:143]
	v_add_f64 v[72:73], v[70:71], -v[88:89]
	v_add_f64 v[34:35], v[82:83], v[86:87]
	v_add_f64 v[70:71], v[82:83], -v[86:87]
	v_add_f64 v[88:89], v[80:81], v[150:151]
	v_add_f64 v[80:81], v[142:143], v[150:151]
	v_fma_f64 v[28:29], v[80:81], -0.5, v[28:29]
	v_add_f64 v[80:81], v[146:147], -v[156:157]
	v_fma_f64 v[90:91], v[80:81], s[14:15], v[28:29]
	v_fma_f64 v[94:95], v[80:81], s[12:13], v[28:29]
	v_add_f64 v[28:29], v[30:31], v[146:147]
	v_add_f64 v[80:81], v[132:133], -v[138:139]
	v_add_f64 v[98:99], v[28:29], v[156:157]
	v_add_f64 v[28:29], v[146:147], v[156:157]
	v_fma_f64 v[28:29], v[28:29], -0.5, v[30:31]
	v_add_f64 v[30:31], v[142:143], -v[150:151]
	v_fma_f64 v[128:129], v[30:31], s[12:13], v[28:29]
	v_fma_f64 v[130:131], v[30:31], s[14:15], v[28:29]
	v_add_f64 v[28:29], v[134:135], v[132:133]
	v_add_f64 v[30:31], v[136:137], -v[140:141]
	v_add_f64 v[92:93], v[28:29], v[138:139]
	v_add_f64 v[28:29], v[132:133], v[138:139]
	;; [unrolled: 1-line block ×3, first 2 shown]
	v_fma_f64 v[28:29], v[28:29], -0.5, v[134:135]
	v_fma_f64 v[82:83], v[30:31], s[14:15], v[28:29]
	v_fma_f64 v[30:31], v[30:31], s[12:13], v[28:29]
	v_add_f64 v[28:29], v[162:163], v[136:137]
	v_add_f64 v[134:135], v[28:29], v[140:141]
	;; [unrolled: 1-line block ×4, first 2 shown]
	v_fma_f64 v[28:29], v[28:29], -0.5, v[162:163]
	v_add_f64 v[98:99], v[98:99], -v[134:135]
	v_fma_f64 v[96:97], v[80:81], s[12:13], v[28:29]
	v_fma_f64 v[132:133], v[80:81], s[14:15], v[28:29]
	v_mul_f64 v[28:29], v[96:97], s[14:15]
	v_fma_f64 v[136:137], v[82:83], 0.5, v[28:29]
	v_mul_f64 v[82:83], v[82:83], s[12:13]
	v_mul_f64 v[28:29], v[30:31], -0.5
	v_add_f64 v[80:81], v[90:91], v[136:137]
	v_fma_f64 v[140:141], v[96:97], 0.5, v[82:83]
	v_mul_f64 v[96:97], v[132:133], -0.5
	v_fma_f64 v[138:139], v[132:133], s[14:15], v[28:29]
	v_add_f64 v[82:83], v[128:129], v[140:141]
	v_fma_f64 v[132:133], v[30:31], s[12:13], v[96:97]
	v_add_f64 v[96:97], v[88:89], -v[92:93]
	v_add_f64 v[92:93], v[90:91], -v[136:137]
	v_add_f64 v[28:29], v[94:95], v[138:139]
	v_add_f64 v[88:89], v[94:95], -v[138:139]
	v_add_f64 v[94:95], v[128:129], -v[140:141]
	v_add_f64 v[128:129], v[24:25], v[108:109]
	v_add_f64 v[30:31], v[130:131], v[132:133]
	v_add_f64 v[90:91], v[130:131], -v[132:133]
	v_add_f64 v[130:131], v[108:109], v[112:113]
	v_add_f64 v[128:129], v[128:129], v[112:113]
	v_fma_f64 v[24:25], v[130:131], -0.5, v[24:25]
	v_add_f64 v[130:131], v[110:111], -v[114:115]
	v_fma_f64 v[132:133], v[130:131], s[14:15], v[24:25]
	v_fma_f64 v[130:131], v[130:131], s[12:13], v[24:25]
	v_add_f64 v[24:25], v[26:27], v[110:111]
	v_add_f64 v[134:135], v[24:25], v[114:115]
	;; [unrolled: 1-line block ×3, first 2 shown]
	v_fma_f64 v[24:25], v[24:25], -0.5, v[26:27]
	v_add_f64 v[26:27], v[108:109], -v[112:113]
	v_fma_f64 v[110:111], v[26:27], s[12:13], v[24:25]
	v_fma_f64 v[136:137], v[26:27], s[14:15], v[24:25]
	v_add_f64 v[24:25], v[104:105], v[102:103]
	v_add_f64 v[26:27], v[106:107], -v[118:119]
	v_add_f64 v[108:109], v[24:25], v[116:117]
	v_add_f64 v[24:25], v[102:103], v[116:117]
	v_fma_f64 v[24:25], v[24:25], -0.5, v[104:105]
	v_add_f64 v[104:105], v[128:129], v[108:109]
	v_fma_f64 v[112:113], v[26:27], s[14:15], v[24:25]
	v_fma_f64 v[26:27], v[26:27], s[12:13], v[24:25]
	v_add_f64 v[24:25], v[100:101], v[106:107]
	v_add_f64 v[114:115], v[24:25], v[118:119]
	;; [unrolled: 1-line block ×4, first 2 shown]
	v_fma_f64 v[24:25], v[24:25], -0.5, v[100:101]
	v_add_f64 v[100:101], v[102:103], -v[116:117]
	v_fma_f64 v[102:103], v[100:101], s[12:13], v[24:25]
	v_fma_f64 v[116:117], v[100:101], s[14:15], v[24:25]
	v_mul_f64 v[24:25], v[102:103], s[14:15]
	v_fma_f64 v[118:119], v[112:113], 0.5, v[24:25]
	v_mul_f64 v[112:113], v[112:113], s[12:13]
	v_mul_f64 v[24:25], v[26:27], -0.5
	v_add_f64 v[100:101], v[132:133], v[118:119]
	v_fma_f64 v[140:141], v[102:103], 0.5, v[112:113]
	v_mul_f64 v[112:113], v[116:117], -0.5
	v_fma_f64 v[138:139], v[116:117], s[14:15], v[24:25]
	v_add_f64 v[116:117], v[128:129], -v[108:109]
	v_add_f64 v[128:129], v[20:21], v[248:249]
	v_add_f64 v[102:103], v[110:111], v[140:141]
	v_fma_f64 v[142:143], v[26:27], s[12:13], v[112:113]
	v_add_f64 v[112:113], v[132:133], -v[118:119]
	v_add_f64 v[118:119], v[134:135], -v[114:115]
	v_add_f64 v[114:115], v[110:111], -v[140:141]
	v_add_f64 v[24:25], v[130:131], v[138:139]
	v_add_f64 v[108:109], v[130:131], -v[138:139]
	v_add_f64 v[26:27], v[136:137], v[142:143]
	v_add_f64 v[110:111], v[136:137], -v[142:143]
	v_add_f64 v[136:137], v[128:129], v[252:253]
	v_add_f64 v[128:129], v[248:249], v[252:253]
	v_fma_f64 v[20:21], v[128:129], -0.5, v[20:21]
	v_add_f64 v[128:129], v[250:251], -v[254:255]
	v_fma_f64 v[138:139], v[128:129], s[14:15], v[20:21]
	v_fma_f64 v[142:143], v[128:129], s[12:13], v[20:21]
	v_add_f64 v[20:21], v[22:23], v[250:251]
	v_add_f64 v[146:147], v[20:21], v[254:255]
	;; [unrolled: 1-line block ×3, first 2 shown]
	v_fma_f64 v[20:21], v[20:21], -0.5, v[22:23]
	v_add_f64 v[22:23], v[248:249], -v[252:253]
	v_fma_f64 v[148:149], v[22:23], s[12:13], v[20:21]
	v_fma_f64 v[150:151], v[22:23], s[14:15], v[20:21]
	v_add_f64 v[20:21], v[240:241], v[238:239]
	v_add_f64 v[22:23], v[242:243], -v[246:247]
	v_add_f64 v[140:141], v[20:21], v[244:245]
	v_add_f64 v[20:21], v[238:239], v[244:245]
	v_fma_f64 v[20:21], v[20:21], -0.5, v[240:241]
	v_fma_f64 v[130:131], v[22:23], s[14:15], v[20:21]
	v_fma_f64 v[134:135], v[22:23], s[12:13], v[20:21]
	v_add_f64 v[20:21], v[236:237], v[242:243]
	v_add_f64 v[22:23], v[238:239], -v[244:245]
	v_add_f64 v[152:153], v[20:21], v[246:247]
	v_add_f64 v[20:21], v[242:243], v[246:247]
	v_fma_f64 v[20:21], v[20:21], -0.5, v[236:237]
	v_fma_f64 v[144:145], v[22:23], s[12:13], v[20:21]
	v_fma_f64 v[154:155], v[22:23], s[14:15], v[20:21]
	v_add_f64 v[20:21], v[136:137], v[140:141]
	v_add_f64 v[136:137], v[136:137], -v[140:141]
	v_mul_f64 v[22:23], v[144:145], s[14:15]
	v_fma_f64 v[156:157], v[130:131], 0.5, v[22:23]
	v_mul_f64 v[22:23], v[134:135], -0.5
	v_mul_f64 v[130:131], v[130:131], s[12:13]
	v_add_f64 v[128:129], v[138:139], v[156:157]
	v_fma_f64 v[158:159], v[154:155], s[14:15], v[22:23]
	v_fma_f64 v[162:163], v[144:145], 0.5, v[130:131]
	v_mul_f64 v[144:145], v[154:155], -0.5
	v_add_f64 v[140:141], v[138:139], -v[156:157]
	v_add_f64 v[156:157], v[226:227], v[230:231]
	v_add_f64 v[22:23], v[146:147], v[152:153]
	v_add_f64 v[138:139], v[146:147], -v[152:153]
	v_add_f64 v[152:153], v[226:227], -v[230:231]
	v_add_f64 v[132:133], v[142:143], v[158:159]
	v_add_f64 v[130:131], v[148:149], v[162:163]
	v_fma_f64 v[154:155], v[134:135], s[12:13], v[144:145]
	v_add_f64 v[144:145], v[142:143], -v[158:159]
	v_fma_f64 v[156:157], v[156:157], -0.5, v[222:223]
	v_add_f64 v[158:159], v[224:225], -v[228:229]
	v_add_f64 v[142:143], v[148:149], -v[162:163]
	v_add_f64 v[148:149], v[220:221], v[224:225]
	v_add_f64 v[134:135], v[150:151], v[154:155]
	v_add_f64 v[146:147], v[150:151], -v[154:155]
	v_add_f64 v[150:151], v[224:225], v[228:229]
	v_fma_f64 v[162:163], v[158:159], s[12:13], v[156:157]
	v_fma_f64 v[156:157], v[158:159], s[14:15], v[156:157]
	v_add_f64 v[158:159], v[124:125], v[122:123]
	v_fma_f64 v[124:125], v[164:165], -0.5, v[124:125]
	v_add_f64 v[164:165], v[126:127], -v[234:235]
	v_add_f64 v[122:123], v[122:123], -v[232:233]
	v_add_f64 v[148:149], v[148:149], v[228:229]
	v_fma_f64 v[150:151], v[150:151], -0.5, v[220:221]
	v_add_f64 v[158:159], v[158:159], v[232:233]
	v_fma_f64 v[166:167], v[164:165], s[14:15], v[124:125]
	v_fma_f64 v[124:125], v[164:165], s[12:13], v[124:125]
	v_add_f64 v[164:165], v[120:121], v[126:127]
	v_add_f64 v[126:127], v[126:127], v[234:235]
	v_fma_f64 v[154:155], v[152:153], s[14:15], v[150:151]
	v_fma_f64 v[150:151], v[152:153], s[12:13], v[150:151]
	v_add_f64 v[152:153], v[222:223], v[226:227]
	v_add_f64 v[236:237], v[148:149], v[158:159]
	v_add_f64 v[228:229], v[148:149], -v[158:159]
	v_mul_f64 v[168:169], v[124:125], -0.5
	v_add_f64 v[164:165], v[164:165], v[234:235]
	v_fma_f64 v[120:121], v[126:127], -0.5, v[120:121]
	v_add_f64 v[152:153], v[152:153], v[230:231]
	v_fma_f64 v[126:127], v[122:123], s[12:13], v[120:121]
	v_fma_f64 v[120:121], v[122:123], s[14:15], v[120:121]
	v_add_f64 v[238:239], v[152:153], v[164:165]
	v_add_f64 v[230:231], v[152:153], -v[164:165]
	v_mul_f64 v[122:123], v[126:127], s[14:15]
	v_fma_f64 v[168:169], v[120:121], s[14:15], v[168:169]
	v_mul_f64 v[120:121], v[120:121], -0.5
	v_fma_f64 v[122:123], v[166:167], 0.5, v[122:123]
	v_mul_f64 v[166:167], v[166:167], s[12:13]
	v_fma_f64 v[120:121], v[124:125], s[12:13], v[120:121]
	v_add_f64 v[224:225], v[150:151], v[168:169]
	v_add_f64 v[240:241], v[150:151], -v[168:169]
	v_add_f64 v[220:221], v[154:155], v[122:123]
	v_fma_f64 v[126:127], v[126:127], 0.5, v[166:167]
	v_add_f64 v[226:227], v[156:157], v[120:121]
	v_add_f64 v[232:233], v[154:155], -v[122:123]
	v_add_f64 v[242:243], v[156:157], -v[120:121]
	v_add_f64 v[222:223], v[162:163], v[126:127]
	v_add_f64 v[234:235], v[162:163], -v[126:127]
	ds_write_b128 v160, v[44:47]
	ds_write_b128 v160, v[40:43] offset:5760
	ds_write_b128 v160, v[36:39] offset:11520
	;; [unrolled: 1-line block ×35, first 2 shown]
	s_waitcnt lgkmcnt(0)
	; wave barrier
	s_waitcnt lgkmcnt(0)
	buffer_load_dword v20, off, s[24:27], 0 offset:1784 ; 4-byte Folded Reload
	v_mov_b32_e32 v25, s3
	ds_read_b128 v[21:24], v160
	s_waitcnt vmcnt(0)
	v_mov_b32_e32 v168, v20
	v_lshlrev_b32_e32 v20, 4, v20
	v_add_co_u32_e64 v36, s[0:1], s2, v20
	v_addc_co_u32_e64 v37, s[0:1], 0, v25, s[0:1]
	global_load_dwordx4 v[25:28], v20, s[2:3]
	v_add_co_u32_e64 v34, s[0:1], s4, v36
	v_addc_co_u32_e64 v35, s[0:1], 0, v37, s[0:1]
	s_waitcnt vmcnt(0) lgkmcnt(0)
	v_mul_f64 v[29:30], v[23:24], v[27:28]
	v_fma_f64 v[29:30], v[21:22], v[25:26], -v[29:30]
	v_mul_f64 v[21:22], v[21:22], v[27:28]
	v_fma_f64 v[31:32], v[23:24], v[25:26], v[21:22]
	global_load_dwordx4 v[25:28], v20, s[2:3] offset:3456
	ds_read_b128 v[21:24], v160 offset:3456
	ds_write_b128 v160, v[29:32]
	s_waitcnt vmcnt(0) lgkmcnt(1)
	v_mul_f64 v[29:30], v[23:24], v[27:28]
	v_fma_f64 v[29:30], v[21:22], v[25:26], -v[29:30]
	v_mul_f64 v[21:22], v[21:22], v[27:28]
	v_fma_f64 v[31:32], v[23:24], v[25:26], v[21:22]
	global_load_dwordx4 v[25:28], v[34:35], off offset:2816
	ds_read_b128 v[21:24], v160 offset:6912
	ds_write_b128 v160, v[29:32] offset:3456
	s_waitcnt vmcnt(0) lgkmcnt(1)
	v_mul_f64 v[29:30], v[23:24], v[27:28]
	v_fma_f64 v[29:30], v[21:22], v[25:26], -v[29:30]
	v_mul_f64 v[21:22], v[21:22], v[27:28]
	v_fma_f64 v[31:32], v[23:24], v[25:26], v[21:22]
	ds_read_b128 v[21:24], v160 offset:10368
	ds_write_b128 v160, v[29:32] offset:6912
	v_add_co_u32_e64 v32, s[0:1], s16, v36
	v_addc_co_u32_e64 v33, s[0:1], 0, v37, s[0:1]
	global_load_dwordx4 v[25:28], v[32:33], off offset:2176
	s_waitcnt vmcnt(0) lgkmcnt(1)
	v_mul_f64 v[29:30], v[23:24], v[27:28]
	v_fma_f64 v[38:39], v[21:22], v[25:26], -v[29:30]
	v_mul_f64 v[21:22], v[21:22], v[27:28]
	v_add_co_u32_e64 v30, s[0:1], s17, v36
	v_addc_co_u32_e64 v31, s[0:1], 0, v37, s[0:1]
	v_fma_f64 v[40:41], v[23:24], v[25:26], v[21:22]
	global_load_dwordx4 v[25:28], v[30:31], off offset:1536
	ds_read_b128 v[21:24], v160 offset:13824
	ds_write_b128 v160, v[38:41] offset:10368
	s_waitcnt vmcnt(0) lgkmcnt(1)
	v_mul_f64 v[38:39], v[23:24], v[27:28]
	v_fma_f64 v[38:39], v[21:22], v[25:26], -v[38:39]
	v_mul_f64 v[21:22], v[21:22], v[27:28]
	v_add_co_u32_e64 v28, s[0:1], s18, v36
	v_addc_co_u32_e64 v29, s[0:1], 0, v37, s[0:1]
	s_movk_i32 s0, 0x5000
	v_fma_f64 v[40:41], v[23:24], v[25:26], v[21:22]
	ds_read_b128 v[21:24], v160 offset:17280
	ds_write_b128 v160, v[38:41] offset:13824
	global_load_dwordx4 v[38:41], v[28:29], off offset:896
	s_waitcnt vmcnt(0) lgkmcnt(1)
	v_mul_f64 v[25:26], v[23:24], v[40:41]
	v_fma_f64 v[42:43], v[21:22], v[38:39], -v[25:26]
	v_mul_f64 v[21:22], v[21:22], v[40:41]
	v_add_co_u32_e64 v26, s[0:1], s0, v36
	v_addc_co_u32_e64 v27, s[0:1], 0, v37, s[0:1]
	buffer_load_dword v25, off, s[24:27], 0 offset:896 ; 4-byte Folded Reload
	s_movk_i32 s0, 0x7000
	v_fma_f64 v[44:45], v[23:24], v[38:39], v[21:22]
	global_load_dwordx4 v[38:41], v[26:27], off offset:256
	ds_read_b128 v[21:24], v160 offset:20736
	ds_write_b128 v160, v[42:45] offset:17280
	s_waitcnt vmcnt(0) lgkmcnt(1)
	v_mul_f64 v[42:43], v[23:24], v[40:41]
	v_fma_f64 v[42:43], v[21:22], v[38:39], -v[42:43]
	v_mul_f64 v[21:22], v[21:22], v[40:41]
	v_fma_f64 v[44:45], v[23:24], v[38:39], v[21:22]
	global_load_dwordx4 v[38:41], v[26:27], off offset:3712
	ds_read_b128 v[21:24], v160 offset:24192
	ds_write_b128 v160, v[42:45] offset:20736
	s_waitcnt vmcnt(0) lgkmcnt(1)
	v_mul_f64 v[42:43], v[23:24], v[40:41]
	v_fma_f64 v[42:43], v[21:22], v[38:39], -v[42:43]
	v_mul_f64 v[21:22], v[21:22], v[40:41]
	v_fma_f64 v[44:45], v[23:24], v[38:39], v[21:22]
	global_load_dwordx4 v[38:41], v25, s[2:3]
	ds_read_b128 v[21:24], v160 offset:27648
	ds_write_b128 v160, v[42:45] offset:24192
	s_waitcnt vmcnt(0) lgkmcnt(1)
	v_mul_f64 v[42:43], v[23:24], v[40:41]
	v_fma_f64 v[42:43], v[21:22], v[38:39], -v[42:43]
	v_mul_f64 v[21:22], v[21:22], v[40:41]
	v_fma_f64 v[44:45], v[23:24], v[38:39], v[21:22]
	v_add_co_u32_e64 v24, s[0:1], s0, v36
	v_addc_co_u32_e64 v25, s[0:1], 0, v37, s[0:1]
	ds_read_b128 v[38:41], v160 offset:31104
	ds_write_b128 v160, v[42:45] offset:27648
	global_load_dwordx4 v[42:45], v[24:25], off offset:2432
	s_waitcnt vmcnt(0) lgkmcnt(1)
	v_mul_f64 v[21:22], v[40:41], v[44:45]
	v_fma_f64 v[46:47], v[38:39], v[42:43], -v[21:22]
	v_mul_f64 v[21:22], v[38:39], v[44:45]
	v_fma_f64 v[48:49], v[40:41], v[42:43], v[21:22]
	global_load_dwordx4 v[42:45], v20, s[2:3] offset:960
	ds_read_b128 v[38:41], v160 offset:960
	ds_write_b128 v160, v[46:49] offset:31104
	s_waitcnt vmcnt(0) lgkmcnt(1)
	v_mul_f64 v[21:22], v[40:41], v[44:45]
	v_fma_f64 v[46:47], v[38:39], v[42:43], -v[21:22]
	v_mul_f64 v[21:22], v[38:39], v[44:45]
	v_fma_f64 v[48:49], v[40:41], v[42:43], v[21:22]
	global_load_dwordx4 v[42:45], v[34:35], off offset:320
	ds_read_b128 v[38:41], v160 offset:4416
	ds_write_b128 v160, v[46:49] offset:960
	s_waitcnt vmcnt(0) lgkmcnt(1)
	v_mul_f64 v[21:22], v[40:41], v[44:45]
	v_fma_f64 v[46:47], v[38:39], v[42:43], -v[21:22]
	v_mul_f64 v[21:22], v[38:39], v[44:45]
	v_fma_f64 v[48:49], v[40:41], v[42:43], v[21:22]
	global_load_dwordx4 v[42:45], v[34:35], off offset:3776
	;; [unrolled: 8-line block ×6, first 2 shown]
	ds_read_b128 v[38:41], v160 offset:21696
	ds_write_b128 v160, v[46:49] offset:18240
	s_waitcnt vmcnt(0) lgkmcnt(1)
	v_mul_f64 v[21:22], v[40:41], v[44:45]
	v_fma_f64 v[46:47], v[38:39], v[42:43], -v[21:22]
	v_mul_f64 v[21:22], v[38:39], v[44:45]
	v_add_co_u32_e64 v38, s[0:1], s5, v36
	v_addc_co_u32_e64 v39, s[0:1], 0, v37, s[0:1]
	s_mov_b32 s0, 0x8000
	v_fma_f64 v[48:49], v[40:41], v[42:43], v[21:22]
	ds_read_b128 v[40:43], v160 offset:25152
	ds_write_b128 v160, v[46:49] offset:21696
	global_load_dwordx4 v[44:47], v[38:39], off offset:576
	s_waitcnt vmcnt(0) lgkmcnt(1)
	v_mul_f64 v[21:22], v[42:43], v[46:47]
	v_fma_f64 v[48:49], v[40:41], v[44:45], -v[21:22]
	v_mul_f64 v[21:22], v[40:41], v[46:47]
	v_fma_f64 v[50:51], v[42:43], v[44:45], v[21:22]
	global_load_dwordx4 v[44:47], v[38:39], off offset:4032
	ds_read_b128 v[40:43], v160 offset:28608
	ds_write_b128 v160, v[48:51] offset:25152
	s_waitcnt vmcnt(0) lgkmcnt(1)
	v_mul_f64 v[21:22], v[42:43], v[46:47]
	v_fma_f64 v[48:49], v[40:41], v[44:45], -v[21:22]
	v_mul_f64 v[21:22], v[40:41], v[46:47]
	v_fma_f64 v[50:51], v[42:43], v[44:45], v[21:22]
	global_load_dwordx4 v[44:47], v[24:25], off offset:3392
	ds_read_b128 v[40:43], v160 offset:32064
	ds_write_b128 v160, v[48:51] offset:28608
	s_waitcnt vmcnt(0) lgkmcnt(1)
	v_mul_f64 v[21:22], v[42:43], v[46:47]
	v_fma_f64 v[48:49], v[40:41], v[44:45], -v[21:22]
	v_mul_f64 v[21:22], v[40:41], v[46:47]
	v_fma_f64 v[50:51], v[42:43], v[44:45], v[21:22]
	global_load_dwordx4 v[20:23], v20, s[2:3] offset:1920
	ds_read_b128 v[40:43], v160 offset:1920
	ds_write_b128 v160, v[48:51] offset:32064
	s_waitcnt vmcnt(0) lgkmcnt(1)
	v_mul_f64 v[44:45], v[42:43], v[22:23]
	v_mul_f64 v[22:23], v[40:41], v[22:23]
	v_fma_f64 v[44:45], v[40:41], v[20:21], -v[44:45]
	v_fma_f64 v[46:47], v[42:43], v[20:21], v[22:23]
	global_load_dwordx4 v[40:43], v[34:35], off offset:1280
	ds_read_b128 v[20:23], v160 offset:5376
	ds_write_b128 v160, v[44:47] offset:1920
	s_waitcnt vmcnt(0) lgkmcnt(1)
	v_mul_f64 v[44:45], v[22:23], v[42:43]
	v_fma_f64 v[44:45], v[20:21], v[40:41], -v[44:45]
	v_mul_f64 v[20:21], v[20:21], v[42:43]
	v_fma_f64 v[46:47], v[22:23], v[40:41], v[20:21]
	global_load_dwordx4 v[40:43], v[32:33], off offset:640
	ds_read_b128 v[20:23], v160 offset:8832
	ds_write_b128 v160, v[44:47] offset:5376
	s_waitcnt vmcnt(0) lgkmcnt(1)
	v_mul_f64 v[44:45], v[22:23], v[42:43]
	v_fma_f64 v[44:45], v[20:21], v[40:41], -v[44:45]
	v_mul_f64 v[20:21], v[20:21], v[42:43]
	v_fma_f64 v[46:47], v[22:23], v[40:41], v[20:21]
	buffer_load_dword v40, off, s[24:27], 0 offset:964 ; 4-byte Folded Reload
	ds_read_b128 v[20:23], v160 offset:12288
	ds_write_b128 v160, v[44:47] offset:8832
	s_waitcnt vmcnt(0)
	global_load_dwordx4 v[40:43], v40, s[2:3]
	s_waitcnt vmcnt(0) lgkmcnt(1)
	v_mul_f64 v[44:45], v[22:23], v[42:43]
	v_fma_f64 v[44:45], v[20:21], v[40:41], -v[44:45]
	v_mul_f64 v[20:21], v[20:21], v[42:43]
	v_fma_f64 v[46:47], v[22:23], v[40:41], v[20:21]
	global_load_dwordx4 v[40:43], v[30:31], off offset:3456
	ds_read_b128 v[20:23], v160 offset:15744
	ds_write_b128 v160, v[44:47] offset:12288
	s_waitcnt vmcnt(0) lgkmcnt(1)
	v_mul_f64 v[44:45], v[22:23], v[42:43]
	v_fma_f64 v[44:45], v[20:21], v[40:41], -v[44:45]
	v_mul_f64 v[20:21], v[20:21], v[42:43]
	v_fma_f64 v[46:47], v[22:23], v[40:41], v[20:21]
	global_load_dwordx4 v[40:43], v[28:29], off offset:2816
	ds_read_b128 v[20:23], v160 offset:19200
	ds_write_b128 v160, v[44:47] offset:15744
	;; [unrolled: 8-line block ×5, first 2 shown]
	s_waitcnt vmcnt(0) lgkmcnt(1)
	v_mul_f64 v[44:45], v[22:23], v[42:43]
	v_fma_f64 v[44:45], v[20:21], v[40:41], -v[44:45]
	v_mul_f64 v[20:21], v[20:21], v[42:43]
	v_fma_f64 v[46:47], v[22:23], v[40:41], v[20:21]
	v_add_co_u32_e64 v40, s[0:1], s0, v36
	v_addc_co_u32_e64 v41, s[0:1], 0, v37, s[0:1]
	ds_read_b128 v[20:23], v160 offset:33024
	ds_write_b128 v160, v[44:47] offset:29568
	global_load_dwordx4 v[42:45], v[40:41], off offset:256
	s_waitcnt vmcnt(0) lgkmcnt(1)
	v_mul_f64 v[46:47], v[22:23], v[44:45]
	v_fma_f64 v[46:47], v[20:21], v[42:43], -v[46:47]
	v_mul_f64 v[20:21], v[20:21], v[44:45]
	v_fma_f64 v[48:49], v[22:23], v[42:43], v[20:21]
	ds_write_b128 v160, v[46:49] offset:33024
	s_and_saveexec_b64 s[0:1], vcc
	s_cbranch_execz .LBB0_9
; %bb.8:
	global_load_dwordx4 v[42:45], v[36:37], off offset:2880
	ds_read_b128 v[20:23], v160 offset:2880
	s_waitcnt vmcnt(0) lgkmcnt(0)
	v_mul_f64 v[36:37], v[22:23], v[44:45]
	v_fma_f64 v[46:47], v[20:21], v[42:43], -v[36:37]
	global_load_dwordx4 v[34:37], v[34:35], off offset:2240
	v_mul_f64 v[20:21], v[20:21], v[44:45]
	v_fma_f64 v[48:49], v[22:23], v[42:43], v[20:21]
	ds_read_b128 v[20:23], v160 offset:6336
	ds_write_b128 v160, v[46:49] offset:2880
	s_waitcnt vmcnt(0) lgkmcnt(1)
	v_mul_f64 v[42:43], v[22:23], v[36:37]
	v_fma_f64 v[42:43], v[20:21], v[34:35], -v[42:43]
	v_mul_f64 v[20:21], v[20:21], v[36:37]
	v_fma_f64 v[44:45], v[22:23], v[34:35], v[20:21]
	global_load_dwordx4 v[32:35], v[32:33], off offset:1600
	ds_read_b128 v[20:23], v160 offset:9792
	ds_write_b128 v160, v[42:45] offset:6336
	s_waitcnt vmcnt(0) lgkmcnt(1)
	v_mul_f64 v[36:37], v[22:23], v[34:35]
	v_fma_f64 v[42:43], v[20:21], v[32:33], -v[36:37]
	v_mul_f64 v[20:21], v[20:21], v[34:35]
	v_fma_f64 v[44:45], v[22:23], v[32:33], v[20:21]
	global_load_dwordx4 v[30:33], v[30:31], off offset:960
	;; [unrolled: 8-line block ×8, first 2 shown]
	ds_read_b128 v[20:23], v160 offset:33984
	ds_write_b128 v160, v[28:31] offset:30528
	s_waitcnt vmcnt(0) lgkmcnt(1)
	v_mul_f64 v[28:29], v[22:23], v[26:27]
	v_fma_f64 v[28:29], v[20:21], v[24:25], -v[28:29]
	v_mul_f64 v[20:21], v[20:21], v[26:27]
	v_fma_f64 v[30:31], v[22:23], v[24:25], v[20:21]
	ds_write_b128 v160, v[28:31] offset:33984
.LBB0_9:
	s_or_b64 exec, exec, s[0:1]
	s_waitcnt lgkmcnt(0)
	; wave barrier
	s_waitcnt lgkmcnt(0)
	ds_read_b128 v[80:83], v160 offset:3456
	ds_read_b128 v[64:67], v160 offset:4416
	;; [unrolled: 1-line block ×28, first 2 shown]
	ds_read_b128 v[104:107], v160
	ds_read_b128 v[20:23], v160 offset:33024
	s_and_saveexec_b64 s[0:1], vcc
	s_cbranch_execz .LBB0_11
; %bb.10:
	ds_read_b128 v[220:223], v160 offset:6336
	ds_read_b128 v[224:227], v160 offset:9792
	;; [unrolled: 1-line block ×6, first 2 shown]
	s_waitcnt lgkmcnt(0)
	buffer_store_dword v128, off, s[24:27], 0 ; 4-byte Folded Spill
	s_nop 0
	buffer_store_dword v129, off, s[24:27], 0 offset:4 ; 4-byte Folded Spill
	buffer_store_dword v130, off, s[24:27], 0 offset:8 ; 4-byte Folded Spill
	;; [unrolled: 1-line block ×3, first 2 shown]
	ds_read_b128 v[128:131], v160 offset:27072
	s_waitcnt lgkmcnt(0)
	buffer_store_dword v128, off, s[24:27], 0 offset:16 ; 4-byte Folded Spill
	s_nop 0
	buffer_store_dword v129, off, s[24:27], 0 offset:20 ; 4-byte Folded Spill
	buffer_store_dword v130, off, s[24:27], 0 offset:24 ; 4-byte Folded Spill
	;; [unrolled: 1-line block ×3, first 2 shown]
	ds_read_b128 v[128:131], v160 offset:30528
	s_waitcnt lgkmcnt(0)
	buffer_store_dword v128, off, s[24:27], 0 offset:32 ; 4-byte Folded Spill
	s_nop 0
	buffer_store_dword v129, off, s[24:27], 0 offset:36 ; 4-byte Folded Spill
	buffer_store_dword v130, off, s[24:27], 0 offset:40 ; 4-byte Folded Spill
	buffer_store_dword v131, off, s[24:27], 0 offset:44 ; 4-byte Folded Spill
	ds_read_b128 v[236:239], v160 offset:2880
	ds_read_b128 v[128:131], v160 offset:33984
	s_waitcnt lgkmcnt(0)
	buffer_store_dword v128, off, s[24:27], 0 offset:48 ; 4-byte Folded Spill
	s_nop 0
	buffer_store_dword v129, off, s[24:27], 0 offset:52 ; 4-byte Folded Spill
	buffer_store_dword v130, off, s[24:27], 0 offset:56 ; 4-byte Folded Spill
	;; [unrolled: 1-line block ×3, first 2 shown]
.LBB0_11:
	s_or_b64 exec, exec, s[0:1]
	s_waitcnt lgkmcnt(9)
	v_add_f64 v[130:131], v[92:93], v[96:97]
	s_waitcnt lgkmcnt(5)
	v_add_f64 v[136:137], v[90:91], -v[102:103]
	s_mov_b32 s0, 0x134454ff
	s_mov_b32 s1, 0xbfee6f0e
	;; [unrolled: 1-line block ×4, first 2 shown]
	v_add_f64 v[138:139], v[94:95], -v[98:99]
	v_add_f64 v[134:135], v[88:89], -v[92:93]
	s_waitcnt lgkmcnt(1)
	v_fma_f64 v[132:133], v[130:131], -0.5, v[104:105]
	v_add_f64 v[140:141], v[100:101], -v[96:97]
	s_mov_b32 s2, 0x4755a5e
	s_mov_b32 s3, 0xbfe2cf23
	;; [unrolled: 1-line block ×6, first 2 shown]
	v_fma_f64 v[130:131], v[136:137], s[0:1], v[132:133]
	v_fma_f64 v[132:133], v[136:137], s[14:15], v[132:133]
	v_add_f64 v[134:135], v[134:135], v[140:141]
	v_add_f64 v[128:129], v[104:105], v[88:89]
	v_add_f64 v[140:141], v[92:93], -v[88:89]
	v_add_f64 v[142:143], v[96:97], -v[100:101]
	s_mov_b32 s16, 0x9b97f4a8
	s_mov_b32 s17, 0x3fe9e377
	v_fma_f64 v[130:131], v[138:139], s[2:3], v[130:131]
	v_fma_f64 v[132:133], v[138:139], s[12:13], v[132:133]
	s_mov_b32 s19, 0xbfd3c6ef
	v_add_f64 v[128:129], v[128:129], v[92:93]
	v_add_f64 v[92:93], v[92:93], -v[96:97]
	v_add_f64 v[140:141], v[140:141], v[142:143]
	s_mov_b32 s18, s4
	s_mov_b32 s21, 0xbfe9e377
	v_fma_f64 v[130:131], v[134:135], s[4:5], v[130:131]
	v_fma_f64 v[132:133], v[134:135], s[4:5], v[132:133]
	v_add_f64 v[134:135], v[88:89], v[100:101]
	v_add_f64 v[128:129], v[128:129], v[96:97]
	v_add_f64 v[88:89], v[88:89], -v[100:101]
	s_mov_b32 s20, s16
	s_waitcnt lgkmcnt(0)
	; wave barrier
	s_waitcnt lgkmcnt(0)
	v_fma_f64 v[104:105], v[134:135], -0.5, v[104:105]
	v_add_f64 v[128:129], v[128:129], v[100:101]
	v_fma_f64 v[134:135], v[138:139], s[14:15], v[104:105]
	v_fma_f64 v[104:105], v[138:139], s[0:1], v[104:105]
	;; [unrolled: 1-line block ×6, first 2 shown]
	v_add_f64 v[104:105], v[106:107], v[90:91]
	v_add_f64 v[140:141], v[102:103], -v[98:99]
	v_add_f64 v[104:105], v[104:105], v[94:95]
	v_add_f64 v[104:105], v[104:105], v[98:99]
	;; [unrolled: 1-line block ×4, first 2 shown]
	v_fma_f64 v[104:105], v[104:105], -0.5, v[106:107]
	v_fma_f64 v[100:101], v[88:89], s[14:15], v[104:105]
	v_fma_f64 v[96:97], v[92:93], s[12:13], v[100:101]
	v_add_f64 v[100:101], v[90:91], -v[94:95]
	v_add_f64 v[100:101], v[100:101], v[140:141]
	v_fma_f64 v[140:141], v[100:101], s[4:5], v[96:97]
	v_fma_f64 v[96:97], v[88:89], s[0:1], v[104:105]
	v_add_f64 v[104:105], v[84:85], -v[76:77]
	v_fma_f64 v[96:97], v[92:93], s[2:3], v[96:97]
	v_fma_f64 v[142:143], v[100:101], s[4:5], v[96:97]
	v_add_f64 v[96:97], v[90:91], v[102:103]
	v_add_f64 v[90:91], v[94:95], -v[90:91]
	v_add_f64 v[94:95], v[98:99], -v[102:103]
	;; [unrolled: 1-line block ×3, first 2 shown]
	v_fma_f64 v[96:97], v[96:97], -0.5, v[106:107]
	v_add_f64 v[106:107], v[76:77], -v[84:85]
	v_add_f64 v[90:91], v[90:91], v[94:95]
	v_add_f64 v[102:103], v[102:103], v[104:105]
	v_add_f64 v[104:105], v[72:73], -v[68:69]
	v_fma_f64 v[100:101], v[92:93], s[0:1], v[96:97]
	v_fma_f64 v[92:93], v[92:93], s[14:15], v[96:97]
	v_add_f64 v[96:97], v[70:71], -v[86:87]
	v_add_f64 v[104:105], v[104:105], v[106:107]
	v_fma_f64 v[100:101], v[88:89], s[12:13], v[100:101]
	v_fma_f64 v[88:89], v[88:89], s[2:3], v[92:93]
	v_add_f64 v[92:93], v[72:73], v[76:77]
	v_fma_f64 v[94:95], v[90:91], s[4:5], v[100:101]
	v_add_f64 v[100:101], v[74:75], -v[78:79]
	v_fma_f64 v[92:93], v[92:93], -0.5, v[80:81]
	v_fma_f64 v[90:91], v[90:91], s[4:5], v[88:89]
	v_add_f64 v[88:89], v[80:81], v[68:69]
	v_fma_f64 v[98:99], v[96:97], s[0:1], v[92:93]
	v_fma_f64 v[92:93], v[96:97], s[14:15], v[92:93]
	v_add_f64 v[88:89], v[88:89], v[72:73]
	v_add_f64 v[72:73], v[72:73], -v[76:77]
	v_fma_f64 v[98:99], v[100:101], s[2:3], v[98:99]
	v_fma_f64 v[92:93], v[100:101], s[12:13], v[92:93]
	v_add_f64 v[88:89], v[88:89], v[76:77]
	v_fma_f64 v[98:99], v[102:103], s[4:5], v[98:99]
	v_fma_f64 v[92:93], v[102:103], s[4:5], v[92:93]
	v_add_f64 v[102:103], v[68:69], v[84:85]
	v_add_f64 v[68:69], v[68:69], -v[84:85]
	v_add_f64 v[88:89], v[88:89], v[84:85]
	v_fma_f64 v[80:81], v[102:103], -0.5, v[80:81]
	v_fma_f64 v[102:103], v[100:101], s[14:15], v[80:81]
	v_fma_f64 v[80:81], v[100:101], s[0:1], v[80:81]
	v_add_f64 v[100:101], v[86:87], -v[78:79]
	v_fma_f64 v[102:103], v[96:97], s[2:3], v[102:103]
	v_fma_f64 v[80:81], v[96:97], s[12:13], v[80:81]
	;; [unrolled: 1-line block ×4, first 2 shown]
	v_add_f64 v[80:81], v[82:83], v[70:71]
	v_add_f64 v[80:81], v[80:81], v[74:75]
	;; [unrolled: 1-line block ×5, first 2 shown]
	v_fma_f64 v[80:81], v[80:81], -0.5, v[82:83]
	v_fma_f64 v[84:85], v[68:69], s[14:15], v[80:81]
	v_fma_f64 v[76:77], v[72:73], s[12:13], v[84:85]
	v_add_f64 v[84:85], v[70:71], -v[74:75]
	v_add_f64 v[84:85], v[84:85], v[100:101]
	v_fma_f64 v[100:101], v[84:85], s[4:5], v[76:77]
	v_fma_f64 v[76:77], v[68:69], s[0:1], v[80:81]
	;; [unrolled: 1-line block ×4, first 2 shown]
	v_add_f64 v[76:77], v[70:71], v[86:87]
	v_add_f64 v[70:71], v[74:75], -v[70:71]
	v_add_f64 v[74:75], v[78:79], -v[86:87]
	v_mul_f64 v[86:87], v[104:105], s[20:21]
	v_fma_f64 v[76:77], v[76:77], -0.5, v[82:83]
	v_add_f64 v[70:71], v[70:71], v[74:75]
	v_mul_f64 v[74:75], v[98:99], s[12:13]
	v_fma_f64 v[156:157], v[92:93], s[12:13], v[86:87]
	v_fma_f64 v[80:81], v[72:73], s[0:1], v[76:77]
	;; [unrolled: 1-line block ×3, first 2 shown]
	v_add_f64 v[86:87], v[142:143], v[156:157]
	v_fma_f64 v[80:81], v[68:69], s[12:13], v[80:81]
	v_fma_f64 v[68:69], v[68:69], s[2:3], v[72:73]
	v_fma_f64 v[78:79], v[70:71], s[4:5], v[80:81]
	v_fma_f64 v[82:83], v[70:71], s[4:5], v[68:69]
	v_mul_f64 v[70:71], v[100:101], s[2:3]
	v_add_f64 v[68:69], v[128:129], v[88:89]
	v_fma_f64 v[144:145], v[98:99], s[16:17], v[70:71]
	v_mul_f64 v[70:71], v[78:79], s[0:1]
	v_fma_f64 v[98:99], v[100:101], s[16:17], v[74:75]
	v_mul_f64 v[78:79], v[78:79], s[4:5]
	v_add_f64 v[72:73], v[130:131], v[144:145]
	v_fma_f64 v[146:147], v[102:103], s[4:5], v[70:71]
	v_mul_f64 v[70:71], v[82:83], s[0:1]
	v_mul_f64 v[82:83], v[82:83], s[18:19]
	v_add_f64 v[100:101], v[130:131], -v[144:145]
	v_add_f64 v[130:131], v[116:117], v[120:121]
	v_add_f64 v[74:75], v[140:141], v[98:99]
	v_fma_f64 v[152:153], v[102:103], s[14:15], v[78:79]
	v_add_f64 v[102:103], v[140:141], -v[98:99]
	v_add_f64 v[76:77], v[134:135], v[146:147]
	v_fma_f64 v[148:149], v[96:97], s[18:19], v[70:71]
	v_mul_f64 v[70:71], v[104:105], s[2:3]
	v_fma_f64 v[154:155], v[96:97], s[14:15], v[82:83]
	v_add_f64 v[104:105], v[128:129], -v[88:89]
	v_add_f64 v[96:97], v[134:135], -v[146:147]
	v_add_f64 v[134:135], v[114:115], -v[126:127]
	v_add_f64 v[140:141], v[124:125], -v[120:121]
	v_add_f64 v[128:129], v[108:109], v[112:113]
	v_add_f64 v[80:81], v[136:137], v[148:149]
	v_fma_f64 v[150:151], v[92:93], s[20:21], v[70:71]
	v_add_f64 v[70:71], v[138:139], v[106:107]
	v_add_f64 v[92:93], v[136:137], -v[148:149]
	v_add_f64 v[106:107], v[138:139], -v[106:107]
	;; [unrolled: 1-line block ×4, first 2 shown]
	v_add_f64 v[128:129], v[128:129], v[116:117]
	v_add_f64 v[78:79], v[94:95], v[152:153]
	;; [unrolled: 1-line block ×3, first 2 shown]
	v_add_f64 v[88:89], v[132:133], -v[150:151]
	v_fma_f64 v[132:133], v[130:131], -0.5, v[108:109]
	v_add_f64 v[82:83], v[90:91], v[154:155]
	v_add_f64 v[98:99], v[94:95], -v[152:153]
	v_add_f64 v[138:139], v[138:139], v[140:141]
	v_add_f64 v[94:95], v[90:91], -v[154:155]
	v_add_f64 v[90:91], v[142:143], -v[156:157]
	v_add_f64 v[128:129], v[128:129], v[120:121]
	v_add_f64 v[140:141], v[116:117], -v[112:113]
	v_fma_f64 v[130:131], v[134:135], s[0:1], v[132:133]
	v_fma_f64 v[132:133], v[134:135], s[14:15], v[132:133]
	v_add_f64 v[142:143], v[120:121], -v[124:125]
	v_add_f64 v[116:117], v[116:117], -v[120:121]
	v_add_f64 v[128:129], v[128:129], v[124:125]
	v_fma_f64 v[130:131], v[136:137], s[2:3], v[130:131]
	v_fma_f64 v[132:133], v[136:137], s[12:13], v[132:133]
	v_add_f64 v[140:141], v[140:141], v[142:143]
	v_add_f64 v[142:143], v[56:57], -v[60:61]
	v_fma_f64 v[130:131], v[138:139], s[4:5], v[130:131]
	v_fma_f64 v[132:133], v[138:139], s[4:5], v[132:133]
	v_add_f64 v[138:139], v[112:113], v[124:125]
	v_add_f64 v[112:113], v[112:113], -v[124:125]
	v_fma_f64 v[108:109], v[138:139], -0.5, v[108:109]
	v_fma_f64 v[138:139], v[136:137], s[14:15], v[108:109]
	v_fma_f64 v[108:109], v[136:137], s[0:1], v[108:109]
	v_add_f64 v[136:137], v[118:119], v[122:123]
	v_fma_f64 v[138:139], v[134:135], s[2:3], v[138:139]
	v_fma_f64 v[108:109], v[134:135], s[12:13], v[108:109]
	v_fma_f64 v[136:137], v[136:137], -0.5, v[110:111]
	v_add_f64 v[134:135], v[110:111], v[114:115]
	v_fma_f64 v[138:139], v[140:141], s[4:5], v[138:139]
	v_fma_f64 v[108:109], v[140:141], s[4:5], v[108:109]
	;; [unrolled: 1-line block ×3, first 2 shown]
	v_add_f64 v[140:141], v[126:127], -v[122:123]
	v_add_f64 v[134:135], v[134:135], v[118:119]
	v_fma_f64 v[120:121], v[116:117], s[12:13], v[124:125]
	v_add_f64 v[124:125], v[114:115], -v[118:119]
	v_add_f64 v[134:135], v[134:135], v[122:123]
	v_add_f64 v[124:125], v[124:125], v[140:141]
	;; [unrolled: 1-line block ×3, first 2 shown]
	v_fma_f64 v[140:141], v[124:125], s[4:5], v[120:121]
	v_fma_f64 v[120:121], v[112:113], s[0:1], v[136:137]
	;; [unrolled: 1-line block ×4, first 2 shown]
	v_add_f64 v[120:121], v[114:115], v[126:127]
	v_add_f64 v[114:115], v[118:119], -v[114:115]
	v_add_f64 v[118:119], v[122:123], -v[126:127]
	;; [unrolled: 1-line block ×5, first 2 shown]
	v_fma_f64 v[110:111], v[120:121], -0.5, v[110:111]
	v_add_f64 v[114:115], v[114:115], v[118:119]
	v_add_f64 v[124:125], v[124:125], v[126:127]
	v_add_f64 v[126:127], v[52:53], -v[48:49]
	v_fma_f64 v[120:121], v[116:117], s[0:1], v[110:111]
	v_fma_f64 v[110:111], v[116:117], s[14:15], v[110:111]
	v_add_f64 v[116:117], v[50:51], -v[62:63]
	v_add_f64 v[126:127], v[126:127], v[142:143]
	v_fma_f64 v[120:121], v[112:113], s[12:13], v[120:121]
	v_fma_f64 v[110:111], v[112:113], s[2:3], v[110:111]
	v_add_f64 v[112:113], v[64:65], v[48:49]
	v_fma_f64 v[118:119], v[114:115], s[4:5], v[120:121]
	v_fma_f64 v[110:111], v[114:115], s[4:5], v[110:111]
	v_add_f64 v[114:115], v[52:53], v[56:57]
	v_add_f64 v[112:113], v[112:113], v[52:53]
	v_add_f64 v[52:53], v[52:53], -v[56:57]
	v_fma_f64 v[114:115], v[114:115], -0.5, v[64:65]
	v_add_f64 v[112:113], v[112:113], v[56:57]
	v_fma_f64 v[120:121], v[116:117], s[0:1], v[114:115]
	v_fma_f64 v[114:115], v[116:117], s[14:15], v[114:115]
	v_add_f64 v[112:113], v[112:113], v[60:61]
	v_fma_f64 v[120:121], v[122:123], s[2:3], v[120:121]
	v_fma_f64 v[114:115], v[122:123], s[12:13], v[114:115]
	;; [unrolled: 1-line block ×4, first 2 shown]
	v_add_f64 v[124:125], v[48:49], v[60:61]
	v_add_f64 v[48:49], v[48:49], -v[60:61]
	v_fma_f64 v[64:65], v[124:125], -0.5, v[64:65]
	v_fma_f64 v[124:125], v[122:123], s[14:15], v[64:65]
	v_fma_f64 v[64:65], v[122:123], s[0:1], v[64:65]
	;; [unrolled: 1-line block ×6, first 2 shown]
	v_add_f64 v[64:65], v[66:67], v[50:51]
	v_add_f64 v[126:127], v[62:63], -v[58:59]
	v_add_f64 v[64:65], v[64:65], v[54:55]
	v_add_f64 v[64:65], v[64:65], v[58:59]
	;; [unrolled: 1-line block ×4, first 2 shown]
	v_fma_f64 v[64:65], v[64:65], -0.5, v[66:67]
	v_fma_f64 v[60:61], v[48:49], s[14:15], v[64:65]
	v_fma_f64 v[56:57], v[52:53], s[12:13], v[60:61]
	v_add_f64 v[60:61], v[50:51], -v[54:55]
	v_add_f64 v[60:61], v[60:61], v[126:127]
	v_fma_f64 v[126:127], v[60:61], s[4:5], v[56:57]
	v_fma_f64 v[56:57], v[48:49], s[0:1], v[64:65]
	;; [unrolled: 1-line block ×4, first 2 shown]
	v_add_f64 v[56:57], v[50:51], v[62:63]
	v_add_f64 v[50:51], v[54:55], -v[50:51]
	v_add_f64 v[54:55], v[58:59], -v[62:63]
	v_fma_f64 v[56:57], v[56:57], -0.5, v[66:67]
	v_mul_f64 v[66:67], v[142:143], s[20:21]
	v_add_f64 v[50:51], v[50:51], v[54:55]
	v_mul_f64 v[54:55], v[120:121], s[12:13]
	v_fma_f64 v[60:61], v[52:53], s[0:1], v[56:57]
	v_fma_f64 v[52:53], v[52:53], s[14:15], v[56:57]
	;; [unrolled: 1-line block ×5, first 2 shown]
	v_add_f64 v[54:55], v[140:141], v[152:153]
	v_fma_f64 v[58:59], v[50:51], s[4:5], v[60:61]
	v_fma_f64 v[62:63], v[50:51], s[4:5], v[48:49]
	v_mul_f64 v[50:51], v[126:127], s[2:3]
	v_add_f64 v[126:127], v[134:135], -v[122:123]
	v_add_f64 v[48:49], v[128:129], v[112:113]
	v_fma_f64 v[144:145], v[120:121], s[16:17], v[50:51]
	v_mul_f64 v[50:51], v[58:59], s[0:1]
	v_mul_f64 v[58:59], v[58:59], s[4:5]
	v_add_f64 v[52:53], v[130:131], v[144:145]
	v_fma_f64 v[146:147], v[124:125], s[4:5], v[50:51]
	v_mul_f64 v[50:51], v[62:63], s[0:1]
	v_mul_f64 v[62:63], v[62:63], s[18:19]
	v_add_f64 v[120:121], v[130:131], -v[144:145]
	v_add_f64 v[130:131], v[36:37], v[40:41]
	v_fma_f64 v[154:155], v[124:125], s[14:15], v[58:59]
	v_add_f64 v[124:125], v[128:129], -v[112:113]
	v_add_f64 v[128:129], v[28:29], v[32:33]
	v_add_f64 v[56:57], v[138:139], v[146:147]
	v_fma_f64 v[148:149], v[116:117], s[18:19], v[50:51]
	v_mul_f64 v[50:51], v[142:143], s[2:3]
	v_fma_f64 v[156:157], v[116:117], s[14:15], v[62:63]
	v_fma_f64 v[142:143], v[114:115], s[12:13], v[66:67]
	v_fma_f64 v[130:131], v[130:131], -0.5, v[28:29]
	v_add_f64 v[116:117], v[138:139], -v[146:147]
	v_add_f64 v[138:139], v[32:33], -v[36:37]
	v_add_f64 v[128:129], v[128:129], v[36:37]
	v_add_f64 v[60:61], v[108:109], v[148:149]
	v_fma_f64 v[150:151], v[114:115], s[20:21], v[50:51]
	v_add_f64 v[50:51], v[134:135], v[122:123]
	v_add_f64 v[134:135], v[34:35], -v[46:47]
	v_add_f64 v[62:63], v[110:111], v[156:157]
	v_add_f64 v[66:67], v[136:137], v[142:143]
	v_add_f64 v[112:113], v[108:109], -v[148:149]
	v_add_f64 v[122:123], v[140:141], -v[152:153]
	;; [unrolled: 1-line block ×3, first 2 shown]
	v_add_f64 v[64:65], v[132:133], v[150:151]
	v_add_f64 v[108:109], v[132:133], -v[150:151]
	v_add_f64 v[110:111], v[136:137], -v[142:143]
	v_fma_f64 v[132:133], v[134:135], s[0:1], v[130:131]
	v_add_f64 v[136:137], v[38:39], -v[42:43]
	v_add_f64 v[140:141], v[44:45], -v[40:41]
	v_fma_f64 v[130:131], v[134:135], s[14:15], v[130:131]
	v_add_f64 v[142:143], v[40:41], -v[44:45]
	v_add_f64 v[128:129], v[128:129], v[40:41]
	v_add_f64 v[58:59], v[118:119], v[154:155]
	v_add_f64 v[118:119], v[118:119], -v[154:155]
	v_fma_f64 v[132:133], v[136:137], s[2:3], v[132:133]
	v_add_f64 v[138:139], v[138:139], v[140:141]
	v_fma_f64 v[130:131], v[136:137], s[12:13], v[130:131]
	v_add_f64 v[140:141], v[36:37], -v[32:33]
	v_add_f64 v[128:129], v[128:129], v[44:45]
	v_add_f64 v[36:37], v[36:37], -v[40:41]
	v_fma_f64 v[132:133], v[138:139], s[4:5], v[132:133]
	v_fma_f64 v[130:131], v[138:139], s[4:5], v[130:131]
	v_add_f64 v[138:139], v[32:33], v[44:45]
	v_add_f64 v[140:141], v[140:141], v[142:143]
	v_add_f64 v[32:33], v[32:33], -v[44:45]
	v_fma_f64 v[28:29], v[138:139], -0.5, v[28:29]
	v_fma_f64 v[138:139], v[136:137], s[14:15], v[28:29]
	v_fma_f64 v[28:29], v[136:137], s[0:1], v[28:29]
	v_add_f64 v[136:137], v[46:47], -v[42:43]
	v_fma_f64 v[138:139], v[134:135], s[2:3], v[138:139]
	v_fma_f64 v[28:29], v[134:135], s[12:13], v[28:29]
	;; [unrolled: 1-line block ×4, first 2 shown]
	v_add_f64 v[28:29], v[30:31], v[34:35]
	v_add_f64 v[28:29], v[28:29], v[38:39]
	;; [unrolled: 1-line block ×5, first 2 shown]
	v_fma_f64 v[28:29], v[28:29], -0.5, v[30:31]
	v_fma_f64 v[44:45], v[32:33], s[14:15], v[28:29]
	v_fma_f64 v[28:29], v[32:33], s[0:1], v[28:29]
	;; [unrolled: 1-line block ×3, first 2 shown]
	v_add_f64 v[44:45], v[34:35], -v[38:39]
	v_fma_f64 v[28:29], v[36:37], s[2:3], v[28:29]
	v_add_f64 v[44:45], v[44:45], v[136:137]
	v_fma_f64 v[144:145], v[44:45], s[4:5], v[28:29]
	v_add_f64 v[28:29], v[34:35], v[46:47]
	v_add_f64 v[34:35], v[38:39], -v[34:35]
	v_add_f64 v[38:39], v[42:43], -v[46:47]
	v_fma_f64 v[142:143], v[44:45], s[4:5], v[40:41]
	v_fma_f64 v[28:29], v[28:29], -0.5, v[30:31]
	v_add_f64 v[34:35], v[34:35], v[38:39]
	v_add_f64 v[38:39], v[20:21], -v[252:253]
	v_fma_f64 v[30:31], v[36:37], s[0:1], v[28:29]
	v_fma_f64 v[28:29], v[36:37], s[14:15], v[28:29]
	v_add_f64 v[36:37], v[244:245], -v[248:249]
	v_fma_f64 v[30:31], v[32:33], s[12:13], v[30:31]
	v_fma_f64 v[28:29], v[32:33], s[2:3], v[28:29]
	v_add_f64 v[36:37], v[36:37], v[38:39]
	v_fma_f64 v[146:147], v[34:35], s[4:5], v[30:31]
	v_fma_f64 v[148:149], v[34:35], s[4:5], v[28:29]
	v_add_f64 v[28:29], v[24:25], v[244:245]
	v_add_f64 v[30:31], v[246:247], -v[22:23]
	v_add_f64 v[34:35], v[250:251], -v[254:255]
	v_add_f64 v[28:29], v[28:29], v[248:249]
	v_add_f64 v[28:29], v[28:29], v[252:253]
	;; [unrolled: 1-line block ×4, first 2 shown]
	v_fma_f64 v[28:29], v[28:29], -0.5, v[24:25]
	v_fma_f64 v[32:33], v[30:31], s[0:1], v[28:29]
	v_fma_f64 v[28:29], v[30:31], s[14:15], v[28:29]
	;; [unrolled: 1-line block ×6, first 2 shown]
	v_add_f64 v[28:29], v[244:245], v[20:21]
	v_add_f64 v[32:33], v[248:249], -v[244:245]
	v_add_f64 v[36:37], v[252:253], -v[20:21]
	;; [unrolled: 1-line block ×3, first 2 shown]
	v_fma_f64 v[24:25], v[28:29], -0.5, v[24:25]
	v_add_f64 v[32:33], v[32:33], v[36:37]
	v_add_f64 v[36:37], v[22:23], -v[254:255]
	v_fma_f64 v[28:29], v[34:35], s[14:15], v[24:25]
	v_fma_f64 v[24:25], v[34:35], s[0:1], v[24:25]
	v_fma_f64 v[28:29], v[30:31], s[2:3], v[28:29]
	v_fma_f64 v[24:25], v[30:31], s[12:13], v[24:25]
	v_add_f64 v[30:31], v[248:249], -v[252:253]
	v_fma_f64 v[44:45], v[32:33], s[4:5], v[28:29]
	v_fma_f64 v[34:35], v[32:33], s[4:5], v[24:25]
	v_add_f64 v[24:25], v[26:27], v[246:247]
	v_add_f64 v[32:33], v[246:247], -v[250:251]
	v_add_f64 v[24:25], v[24:25], v[250:251]
	v_add_f64 v[32:33], v[32:33], v[36:37]
	;; [unrolled: 1-line block ×5, first 2 shown]
	v_fma_f64 v[24:25], v[24:25], -0.5, v[26:27]
	v_fma_f64 v[28:29], v[20:21], s[14:15], v[24:25]
	v_fma_f64 v[24:25], v[20:21], s[0:1], v[24:25]
	;; [unrolled: 1-line block ×6, first 2 shown]
	v_add_f64 v[24:25], v[246:247], v[22:23]
	v_add_f64 v[28:29], v[250:251], -v[246:247]
	v_add_f64 v[22:23], v[254:255], -v[22:23]
	v_fma_f64 v[24:25], v[24:25], -0.5, v[26:27]
	v_add_f64 v[22:23], v[28:29], v[22:23]
	v_fma_f64 v[26:27], v[30:31], s[0:1], v[24:25]
	v_fma_f64 v[24:25], v[30:31], s[14:15], v[24:25]
	;; [unrolled: 1-line block ×6, first 2 shown]
	v_mul_f64 v[22:23], v[136:137], s[2:3]
	v_mul_f64 v[26:27], v[38:39], s[12:13]
	v_add_f64 v[20:21], v[128:129], v[40:41]
	v_add_f64 v[40:41], v[128:129], -v[40:41]
	v_mul_f64 v[30:31], v[152:153], s[4:5]
	v_fma_f64 v[156:157], v[38:39], s[16:17], v[22:23]
	v_mul_f64 v[22:23], v[152:153], s[0:1]
	v_mul_f64 v[38:39], v[154:155], s[18:19]
	v_fma_f64 v[166:167], v[136:137], s[16:17], v[26:27]
	v_fma_f64 v[152:153], v[44:45], s[14:15], v[30:31]
	v_add_f64 v[24:25], v[132:133], v[156:157]
	v_fma_f64 v[158:159], v[44:45], s[4:5], v[22:23]
	v_mul_f64 v[22:23], v[154:155], s[0:1]
	v_fma_f64 v[154:155], v[34:35], s[14:15], v[38:39]
	v_mul_f64 v[38:39], v[150:151], s[20:21]
	v_add_f64 v[26:27], v[142:143], v[166:167]
	v_add_f64 v[30:31], v[146:147], v[152:153]
	v_add_f64 v[44:45], v[132:133], -v[156:157]
	v_add_f64 v[28:29], v[138:139], v[158:159]
	v_fma_f64 v[162:163], v[34:35], s[18:19], v[22:23]
	v_mul_f64 v[22:23], v[150:151], s[2:3]
	v_fma_f64 v[150:151], v[42:43], s[12:13], v[38:39]
	v_add_f64 v[34:35], v[148:149], v[154:155]
	v_add_f64 v[128:129], v[138:139], -v[158:159]
	v_add_f64 v[32:33], v[134:135], v[162:163]
	v_fma_f64 v[164:165], v[42:43], s[20:21], v[22:23]
	v_add_f64 v[22:23], v[140:141], v[46:47]
	v_add_f64 v[42:43], v[140:141], -v[46:47]
	buffer_load_dword v140, off, s[24:27], 0 offset:648 ; 4-byte Folded Reload
	v_add_f64 v[38:39], v[144:145], v[150:151]
	v_add_f64 v[132:133], v[134:135], -v[162:163]
	s_waitcnt vmcnt(0)
	ds_write_b128 v140, v[68:71]
	ds_write_b128 v140, v[72:75] offset:16
	ds_write_b128 v140, v[76:79] offset:32
	;; [unrolled: 1-line block ×9, first 2 shown]
	buffer_load_dword v68, off, s[24:27], 0 offset:652 ; 4-byte Folded Reload
	v_add_f64 v[36:37], v[130:131], v[164:165]
	v_add_f64 v[136:137], v[130:131], -v[164:165]
	v_add_f64 v[46:47], v[142:143], -v[166:167]
	v_add_f64 v[130:131], v[146:147], -v[152:153]
	v_add_f64 v[134:135], v[148:149], -v[154:155]
	v_add_f64 v[138:139], v[144:145], -v[150:151]
	s_waitcnt vmcnt(0)
	ds_write_b128 v68, v[48:51]
	ds_write_b128 v68, v[52:55] offset:16
	ds_write_b128 v68, v[56:59] offset:32
	;; [unrolled: 1-line block ×9, first 2 shown]
	ds_write_b128 v161, v[20:23]
	ds_write_b128 v161, v[24:27] offset:16
	ds_write_b128 v161, v[28:31] offset:32
	;; [unrolled: 1-line block ×9, first 2 shown]
	s_and_saveexec_b64 s[22:23], vcc
	s_cbranch_execz .LBB0_13
; %bb.12:
	buffer_load_dword v90, off, s[24:27], 0 offset:16 ; 4-byte Folded Reload
	buffer_load_dword v91, off, s[24:27], 0 offset:20 ; 4-byte Folded Reload
	;; [unrolled: 1-line block ×4, first 2 shown]
	buffer_load_dword v86, off, s[24:27], 0 ; 4-byte Folded Reload
	buffer_load_dword v87, off, s[24:27], 0 offset:4 ; 4-byte Folded Reload
	buffer_load_dword v88, off, s[24:27], 0 offset:8 ; 4-byte Folded Reload
	;; [unrolled: 1-line block ×11, first 2 shown]
	v_add_f64 v[36:37], v[228:229], -v[240:241]
	v_add_f64 v[22:23], v[226:227], -v[234:235]
	;; [unrolled: 1-line block ×7, first 2 shown]
	v_add_f64 v[82:83], v[236:237], v[224:225]
	v_add_f64 v[84:85], v[220:221], v[228:229]
	s_waitcnt vmcnt(8)
	v_add_f64 v[26:27], v[234:235], v[88:89]
	v_add_f64 v[30:31], v[232:233], -v[86:87]
	v_add_f64 v[32:33], v[240:241], v[90:91]
	s_waitcnt vmcnt(4)
	v_add_f64 v[58:59], v[226:227], v[96:97]
	s_waitcnt vmcnt(2)
	v_add_f64 v[38:39], v[98:99], -v[90:91]
	s_waitcnt vmcnt(0)
	v_add_f64 v[56:57], v[230:231], v[100:101]
	v_add_f64 v[24:25], v[96:97], -v[88:89]
	v_add_f64 v[40:41], v[230:231], -v[100:101]
	;; [unrolled: 1-line block ×4, first 2 shown]
	v_fma_f64 v[32:33], v[32:33], -0.5, v[220:221]
	v_add_f64 v[62:63], v[228:229], v[98:99]
	v_add_f64 v[36:37], v[36:37], v[38:39]
	v_fma_f64 v[38:39], v[56:57], -0.5, v[222:223]
	v_fma_f64 v[58:59], v[58:59], -0.5, v[238:239]
	v_add_f64 v[28:29], v[224:225], -v[94:95]
	v_add_f64 v[34:35], v[228:229], -v[98:99]
	;; [unrolled: 1-line block ×4, first 2 shown]
	v_fma_f64 v[26:27], v[26:27], -0.5, v[238:239]
	v_add_f64 v[42:43], v[42:43], v[44:45]
	v_fma_f64 v[44:45], v[40:41], s[14:15], v[32:33]
	v_add_f64 v[66:67], v[92:93], -v[100:101]
	v_add_f64 v[24:25], v[22:23], v[24:25]
	v_fma_f64 v[22:23], v[62:63], -0.5, v[220:221]
	v_fma_f64 v[62:63], v[46:47], s[14:15], v[38:39]
	v_add_f64 v[70:71], v[90:91], -v[98:99]
	v_fma_f64 v[38:39], v[46:47], s[0:1], v[38:39]
	v_fma_f64 v[72:73], v[30:31], s[14:15], v[58:59]
	;; [unrolled: 1-line block ×4, first 2 shown]
	v_add_f64 v[20:21], v[242:243], v[92:93]
	v_fma_f64 v[56:57], v[28:29], s[0:1], v[26:27]
	v_fma_f64 v[44:45], v[50:51], s[12:13], v[44:45]
	v_add_f64 v[64:65], v[64:65], v[66:67]
	v_fma_f64 v[62:63], v[34:35], s[2:3], v[62:63]
	v_add_f64 v[52:53], v[52:53], v[54:55]
	v_add_f64 v[54:55], v[60:61], v[70:71]
	v_fma_f64 v[38:39], v[34:35], s[12:13], v[38:39]
	v_fma_f64 v[70:71], v[28:29], s[2:3], v[72:73]
	;; [unrolled: 1-line block ×5, first 2 shown]
	v_fma_f64 v[20:21], v[20:21], -0.5, v[222:223]
	v_fma_f64 v[56:57], v[30:31], s[2:3], v[56:57]
	v_fma_f64 v[44:45], v[36:37], s[4:5], v[44:45]
	;; [unrolled: 1-line block ×6, first 2 shown]
	v_add_f64 v[30:31], v[232:233], v[86:87]
	v_fma_f64 v[52:53], v[52:53], s[4:5], v[28:29]
	v_fma_f64 v[28:29], v[36:37], s[4:5], v[32:33]
	v_add_f64 v[32:33], v[238:239], v[226:227]
	v_add_f64 v[36:37], v[222:223], v[230:231]
	v_fma_f64 v[48:49], v[34:35], s[0:1], v[20:21]
	v_fma_f64 v[56:57], v[24:25], s[4:5], v[56:57]
	;; [unrolled: 1-line block ×3, first 2 shown]
	v_fma_f64 v[24:25], v[30:31], -0.5, v[236:237]
	v_fma_f64 v[66:67], v[50:51], s[0:1], v[22:23]
	v_fma_f64 v[20:21], v[34:35], s[14:15], v[20:21]
	v_add_f64 v[30:31], v[32:33], v[234:235]
	v_add_f64 v[32:33], v[36:37], v[242:243]
	;; [unrolled: 1-line block ×3, first 2 shown]
	v_fma_f64 v[48:49], v[46:47], s[2:3], v[48:49]
	v_add_f64 v[70:71], v[234:235], -v[88:89]
	v_add_f64 v[78:79], v[86:87], -v[94:95]
	v_fma_f64 v[60:61], v[40:41], s[12:13], v[66:67]
	v_fma_f64 v[20:21], v[46:47], s[12:13], v[20:21]
	v_add_f64 v[46:47], v[226:227], -v[96:97]
	v_fma_f64 v[66:67], v[50:51], s[14:15], v[22:23]
	v_fma_f64 v[36:37], v[36:37], -0.5, v[236:237]
	v_fma_f64 v[48:49], v[42:43], s[4:5], v[48:49]
	v_mul_f64 v[72:73], v[62:63], s[18:19]
	v_add_f64 v[76:77], v[76:77], v[78:79]
	v_fma_f64 v[60:61], v[54:55], s[4:5], v[60:61]
	v_mul_f64 v[62:63], v[62:63], s[0:1]
	v_mul_f64 v[34:35], v[38:39], s[4:5]
	v_fma_f64 v[40:41], v[40:41], s[2:3], v[66:67]
	v_fma_f64 v[80:81], v[70:71], s[0:1], v[36:37]
	v_mul_f64 v[68:69], v[48:49], s[20:21]
	v_fma_f64 v[36:37], v[70:71], s[14:15], v[36:37]
	v_mul_f64 v[48:49], v[48:49], s[2:3]
	v_fma_f64 v[50:51], v[60:61], s[14:15], v[72:73]
	v_fma_f64 v[66:67], v[46:47], s[14:15], v[24:25]
	;; [unrolled: 1-line block ×7, first 2 shown]
	v_add_f64 v[46:47], v[82:83], v[232:233]
	v_fma_f64 v[82:83], v[44:45], s[20:21], v[48:49]
	v_fma_f64 v[40:41], v[54:55], s[4:5], v[40:41]
	;; [unrolled: 1-line block ×3, first 2 shown]
	v_add_f64 v[80:81], v[84:85], v[240:241]
	v_fma_f64 v[44:45], v[76:77], s[4:5], v[78:79]
	v_fma_f64 v[20:21], v[42:43], s[4:5], v[20:21]
	v_add_f64 v[42:43], v[94:95], -v[86:87]
	v_mul_f64 v[26:27], v[28:29], s[12:13]
	v_add_f64 v[74:75], v[30:31], v[88:89]
	v_fma_f64 v[54:55], v[40:41], s[14:15], v[34:35]
	v_add_f64 v[34:35], v[224:225], -v[232:233]
	v_add_f64 v[32:33], v[32:33], v[92:93]
	v_add_f64 v[24:25], v[44:45], -v[60:61]
	v_add_f64 v[44:45], v[44:45], v[60:61]
	buffer_load_dword v60, off, s[24:27], 0 offset:1788 ; 4-byte Folded Reload
	v_add_f64 v[46:47], v[46:47], v[86:87]
	v_add_f64 v[62:63], v[80:81], v[90:91]
	v_fma_f64 v[66:67], v[70:71], s[12:13], v[66:67]
	v_add_f64 v[42:43], v[34:35], v[42:43]
	v_mul_f64 v[70:71], v[20:21], s[2:3]
	v_mul_f64 v[38:39], v[38:39], s[0:1]
	v_fma_f64 v[72:73], v[20:21], s[16:17], v[26:27]
	v_add_f64 v[74:75], v[74:75], v[96:97]
	v_add_f64 v[32:33], v[32:33], v[100:101]
	;; [unrolled: 1-line block ×4, first 2 shown]
	v_fma_f64 v[36:37], v[76:77], s[4:5], v[36:37]
	v_fma_f64 v[76:77], v[42:43], s[4:5], v[48:49]
	;; [unrolled: 1-line block ×5, first 2 shown]
	v_add_f64 v[22:23], v[56:57], -v[68:69]
	v_add_f64 v[26:27], v[64:65], -v[50:51]
	v_add_f64 v[30:31], v[52:53], -v[54:55]
	v_add_f64 v[34:35], v[58:59], -v[72:73]
	v_add_f64 v[42:43], v[56:57], v[68:69]
	v_add_f64 v[46:47], v[64:65], v[50:51]
	;; [unrolled: 1-line block ×8, first 2 shown]
	v_add_f64 v[28:29], v[36:37], -v[40:41]
	v_add_f64 v[40:41], v[66:67], v[82:83]
	v_add_f64 v[38:39], v[74:75], -v[32:33]
	v_add_f64 v[36:37], v[78:79], -v[62:63]
	;; [unrolled: 1-line block ×4, first 2 shown]
	s_waitcnt vmcnt(0)
	v_lshlrev_b32_e32 v60, 4, v60
	ds_write_b128 v60, v[56:59]
	ds_write_b128 v60, v[52:55] offset:16
	ds_write_b128 v60, v[48:51] offset:32
	;; [unrolled: 1-line block ×9, first 2 shown]
.LBB0_13:
	s_or_b64 exec, exec, s[22:23]
	s_waitcnt lgkmcnt(0)
	; wave barrier
	s_waitcnt lgkmcnt(0)
	ds_read_b128 v[20:23], v160 offset:5760
	buffer_load_dword v26, off, s[24:27], 0 offset:632 ; 4-byte Folded Reload
	buffer_load_dword v27, off, s[24:27], 0 offset:636 ; 4-byte Folded Reload
	;; [unrolled: 1-line block ×4, first 2 shown]
	s_mov_b32 s2, 0xe8584caa
	s_mov_b32 s3, 0xbfebb67a
	;; [unrolled: 1-line block ×4, first 2 shown]
	s_waitcnt vmcnt(0) lgkmcnt(0)
	v_mul_f64 v[24:25], v[28:29], v[22:23]
	v_fma_f64 v[24:25], v[26:27], v[20:21], v[24:25]
	v_mul_f64 v[20:21], v[28:29], v[20:21]
	v_fma_f64 v[26:27], v[26:27], v[22:23], -v[20:21]
	ds_read_b128 v[20:23], v160 offset:11520
	buffer_load_dword v30, off, s[24:27], 0 offset:600 ; 4-byte Folded Reload
	buffer_load_dword v31, off, s[24:27], 0 offset:604 ; 4-byte Folded Reload
	buffer_load_dword v32, off, s[24:27], 0 offset:608 ; 4-byte Folded Reload
	buffer_load_dword v33, off, s[24:27], 0 offset:612 ; 4-byte Folded Reload
	s_waitcnt vmcnt(0) lgkmcnt(0)
	v_mul_f64 v[28:29], v[32:33], v[22:23]
	v_fma_f64 v[28:29], v[30:31], v[20:21], v[28:29]
	v_mul_f64 v[20:21], v[32:33], v[20:21]
	v_fma_f64 v[30:31], v[30:31], v[22:23], -v[20:21]
	ds_read_b128 v[20:23], v160 offset:17280
	buffer_load_dword v34, off, s[24:27], 0 offset:584 ; 4-byte Folded Reload
	buffer_load_dword v35, off, s[24:27], 0 offset:588 ; 4-byte Folded Reload
	buffer_load_dword v36, off, s[24:27], 0 offset:592 ; 4-byte Folded Reload
	buffer_load_dword v37, off, s[24:27], 0 offset:596 ; 4-byte Folded Reload
	;; [unrolled: 10-line block ×29, first 2 shown]
	s_waitcnt vmcnt(0) lgkmcnt(0)
	v_mul_f64 v[48:49], v[134:135], v[22:23]
	v_fma_f64 v[50:51], v[132:133], v[20:21], v[48:49]
	v_mul_f64 v[20:21], v[134:135], v[20:21]
	v_fma_f64 v[48:49], v[132:133], v[22:23], -v[20:21]
	v_add_f64 v[132:133], v[28:29], v[144:145]
	ds_read_b128 v[20:23], v160
	s_waitcnt lgkmcnt(0)
	v_fma_f64 v[152:153], v[132:133], -0.5, v[20:21]
	v_add_f64 v[132:133], v[30:31], v[146:147]
	v_add_f64 v[20:21], v[20:21], v[28:29]
	v_add_f64 v[28:29], v[28:29], -v[144:145]
	v_fma_f64 v[154:155], v[132:133], -0.5, v[22:23]
	v_add_f64 v[132:133], v[24:25], v[140:141]
	v_add_f64 v[22:23], v[22:23], v[30:31]
	;; [unrolled: 1-line block ×8, first 2 shown]
	v_add_f64 v[136:137], v[20:21], -v[136:137]
	v_add_f64 v[20:21], v[30:31], -v[146:147]
	;; [unrolled: 1-line block ×3, first 2 shown]
	v_add_f64 v[134:135], v[22:23], v[138:139]
	v_add_f64 v[138:139], v[22:23], -v[138:139]
	v_add_f64 v[22:23], v[142:143], v[150:151]
	v_fma_f64 v[22:23], v[22:23], -0.5, v[26:27]
	v_add_f64 v[26:27], v[140:141], v[148:149]
	v_fma_f64 v[140:141], v[30:31], s[0:1], v[22:23]
	v_fma_f64 v[24:25], v[26:27], -0.5, v[24:25]
	v_add_f64 v[26:27], v[142:143], -v[150:151]
	v_fma_f64 v[22:23], v[30:31], s[2:3], v[22:23]
	v_fma_f64 v[150:151], v[28:29], s[0:1], v[154:155]
	;; [unrolled: 1-line block ×3, first 2 shown]
	v_mul_f64 v[142:143], v[140:141], s[2:3]
	v_mul_f64 v[140:141], v[140:141], 0.5
	v_fma_f64 v[144:145], v[26:27], s[2:3], v[24:25]
	v_fma_f64 v[24:25], v[26:27], s[0:1], v[24:25]
	v_mul_f64 v[26:27], v[22:23], s[2:3]
	v_mul_f64 v[22:23], v[22:23], -0.5
	v_fma_f64 v[146:147], v[144:145], 0.5, v[142:143]
	v_fma_f64 v[148:149], v[144:145], s[0:1], v[140:141]
	v_fma_f64 v[144:145], v[20:21], s[2:3], v[152:153]
	;; [unrolled: 1-line block ×3, first 2 shown]
	v_fma_f64 v[26:27], v[24:25], -0.5, v[26:27]
	v_fma_f64 v[22:23], v[24:25], s[0:1], v[22:23]
	v_add_f64 v[142:143], v[150:151], v[148:149]
	v_add_f64 v[140:141], v[144:145], v[146:147]
	v_add_f64 v[144:145], v[144:145], -v[146:147]
	v_add_f64 v[146:147], v[150:151], -v[148:149]
	v_add_f64 v[148:149], v[20:21], v[26:27]
	v_add_f64 v[150:151], v[28:29], v[22:23]
	v_add_f64 v[152:153], v[20:21], -v[26:27]
	v_add_f64 v[154:155], v[28:29], -v[22:23]
	ds_read_b128 v[20:23], v160 offset:4800
	ds_read_b128 v[156:159], v160 offset:960
	;; [unrolled: 1-line block ×5, first 2 shown]
	s_waitcnt lgkmcnt(0)
	; wave barrier
	s_waitcnt lgkmcnt(0)
	buffer_load_dword v165, off, s[24:27], 0 offset:1132 ; 4-byte Folded Reload
	s_waitcnt vmcnt(0)
	ds_write_b128 v165, v[132:135]
	ds_write_b128 v165, v[140:143] offset:160
	ds_write_b128 v165, v[148:151] offset:320
	;; [unrolled: 1-line block ×5, first 2 shown]
	v_add_f64 v[132:133], v[116:117], v[124:125]
	v_add_f64 v[134:135], v[158:159], v[118:119]
	v_fma_f64 v[140:141], v[132:133], -0.5, v[156:157]
	v_add_f64 v[132:133], v[118:119], v[126:127]
	v_add_f64 v[138:139], v[134:135], v[126:127]
	v_add_f64 v[126:127], v[118:119], -v[126:127]
	v_fma_f64 v[142:143], v[132:133], -0.5, v[158:159]
	v_add_f64 v[132:133], v[156:157], v[116:117]
	v_add_f64 v[136:137], v[132:133], v[124:125]
	;; [unrolled: 1-line block ×3, first 2 shown]
	v_add_f64 v[124:125], v[116:117], -v[124:125]
	v_add_f64 v[144:145], v[132:133], v[130:131]
	v_add_f64 v[132:133], v[114:115], v[120:121]
	;; [unrolled: 1-line block ×4, first 2 shown]
	v_add_f64 v[136:137], v[136:137], -v[144:145]
	v_add_f64 v[144:145], v[120:121], v[128:129]
	v_add_f64 v[120:121], v[120:121], -v[128:129]
	v_add_f64 v[134:135], v[138:139], v[146:147]
	v_add_f64 v[138:139], v[138:139], -v[146:147]
	v_fma_f64 v[146:147], v[124:125], s[0:1], v[142:143]
	v_fma_f64 v[144:145], v[144:145], -0.5, v[114:115]
	v_add_f64 v[114:115], v[122:123], v[130:131]
	v_add_f64 v[122:123], v[122:123], -v[130:131]
	v_fma_f64 v[130:131], v[114:115], -0.5, v[112:113]
	v_fma_f64 v[112:113], v[122:123], s[0:1], v[144:145]
	v_fma_f64 v[122:123], v[122:123], s[2:3], v[144:145]
	;; [unrolled: 1-line block ×3, first 2 shown]
	v_mul_f64 v[114:115], v[112:113], s[2:3]
	v_mul_f64 v[112:113], v[112:113], 0.5
	v_fma_f64 v[120:121], v[120:121], s[0:1], v[130:131]
	v_fma_f64 v[118:119], v[116:117], 0.5, v[114:115]
	v_fma_f64 v[128:129], v[116:117], s[0:1], v[112:113]
	v_fma_f64 v[116:117], v[126:127], s[2:3], v[140:141]
	;; [unrolled: 1-line block ×3, first 2 shown]
	v_add_f64 v[114:115], v[146:147], v[128:129]
	v_add_f64 v[112:113], v[116:117], v[118:119]
	v_add_f64 v[116:117], v[116:117], -v[118:119]
	v_add_f64 v[118:119], v[146:147], -v[128:129]
	v_fma_f64 v[128:129], v[124:125], s[2:3], v[142:143]
	v_mul_f64 v[124:125], v[122:123], s[2:3]
	v_mul_f64 v[122:123], v[122:123], -0.5
	v_fma_f64 v[124:125], v[120:121], -0.5, v[124:125]
	v_fma_f64 v[130:131], v[120:121], s[0:1], v[122:123]
	v_add_f64 v[120:121], v[126:127], v[124:125]
	v_add_f64 v[122:123], v[128:129], v[130:131]
	v_add_f64 v[124:125], v[126:127], -v[124:125]
	v_add_f64 v[126:127], v[128:129], -v[130:131]
	buffer_load_dword v128, off, s[24:27], 0 offset:1080 ; 4-byte Folded Reload
	s_waitcnt vmcnt(0)
	ds_write_b128 v128, v[132:135]
	ds_write_b128 v128, v[112:115] offset:160
	ds_write_b128 v128, v[120:123] offset:320
	;; [unrolled: 1-line block ×5, first 2 shown]
	v_add_f64 v[112:113], v[94:95], v[104:105]
	v_add_f64 v[114:115], v[163:164], v[98:99]
	v_fma_f64 v[120:121], v[112:113], -0.5, v[161:162]
	v_add_f64 v[112:113], v[98:99], v[106:107]
	v_add_f64 v[118:119], v[114:115], v[106:107]
	v_add_f64 v[106:107], v[98:99], -v[106:107]
	v_fma_f64 v[122:123], v[112:113], -0.5, v[163:164]
	v_add_f64 v[112:113], v[161:162], v[94:95]
	v_add_f64 v[116:117], v[112:113], v[104:105]
	;; [unrolled: 1-line block ×3, first 2 shown]
	v_add_f64 v[104:105], v[94:95], -v[104:105]
	v_add_f64 v[124:125], v[112:113], v[110:111]
	v_add_f64 v[112:113], v[96:97], v[100:101]
	;; [unrolled: 1-line block ×4, first 2 shown]
	v_add_f64 v[116:117], v[116:117], -v[124:125]
	v_add_f64 v[124:125], v[100:101], v[108:109]
	v_add_f64 v[100:101], v[100:101], -v[108:109]
	v_add_f64 v[114:115], v[118:119], v[126:127]
	v_add_f64 v[118:119], v[118:119], -v[126:127]
	v_fma_f64 v[126:127], v[104:105], s[0:1], v[122:123]
	v_fma_f64 v[124:125], v[124:125], -0.5, v[96:97]
	v_add_f64 v[96:97], v[102:103], v[110:111]
	v_add_f64 v[102:103], v[102:103], -v[110:111]
	v_fma_f64 v[110:111], v[96:97], -0.5, v[92:93]
	v_fma_f64 v[92:93], v[102:103], s[0:1], v[124:125]
	v_fma_f64 v[102:103], v[102:103], s[2:3], v[124:125]
	;; [unrolled: 1-line block ×3, first 2 shown]
	v_mul_f64 v[94:95], v[92:93], s[2:3]
	v_mul_f64 v[92:93], v[92:93], 0.5
	v_fma_f64 v[100:101], v[100:101], s[0:1], v[110:111]
	v_fma_f64 v[98:99], v[96:97], 0.5, v[94:95]
	v_fma_f64 v[108:109], v[96:97], s[0:1], v[92:93]
	v_fma_f64 v[96:97], v[106:107], s[2:3], v[120:121]
	;; [unrolled: 1-line block ×3, first 2 shown]
	v_add_f64 v[94:95], v[126:127], v[108:109]
	v_add_f64 v[92:93], v[96:97], v[98:99]
	v_add_f64 v[96:97], v[96:97], -v[98:99]
	v_add_f64 v[98:99], v[126:127], -v[108:109]
	v_fma_f64 v[108:109], v[104:105], s[2:3], v[122:123]
	v_mul_f64 v[104:105], v[102:103], s[2:3]
	v_mul_f64 v[102:103], v[102:103], -0.5
	v_fma_f64 v[104:105], v[100:101], -0.5, v[104:105]
	v_fma_f64 v[110:111], v[100:101], s[0:1], v[102:103]
	v_add_f64 v[100:101], v[106:107], v[104:105]
	v_add_f64 v[102:103], v[108:109], v[110:111]
	v_add_f64 v[104:105], v[106:107], -v[104:105]
	v_add_f64 v[106:107], v[108:109], -v[110:111]
	buffer_load_dword v108, off, s[24:27], 0 offset:1076 ; 4-byte Folded Reload
	s_waitcnt vmcnt(0)
	ds_write_b128 v108, v[112:115]
	ds_write_b128 v108, v[92:95] offset:160
	ds_write_b128 v108, v[100:103] offset:320
	;; [unrolled: 1-line block ×5, first 2 shown]
	v_add_f64 v[92:93], v[76:77], v[84:85]
	v_fma_f64 v[96:97], v[92:93], -0.5, v[28:29]
	v_add_f64 v[92:93], v[78:79], v[86:87]
	v_add_f64 v[28:29], v[28:29], v[76:77]
	v_fma_f64 v[98:99], v[92:93], -0.5, v[30:31]
	v_add_f64 v[92:93], v[28:29], v[84:85]
	v_add_f64 v[28:29], v[72:73], v[82:83]
	;; [unrolled: 1-line block ×3, first 2 shown]
	v_add_f64 v[84:85], v[76:77], -v[84:85]
	v_add_f64 v[100:101], v[28:29], v[90:91]
	v_add_f64 v[28:29], v[74:75], v[80:81]
	;; [unrolled: 1-line block ×3, first 2 shown]
	v_add_f64 v[86:87], v[78:79], -v[86:87]
	v_add_f64 v[102:103], v[28:29], v[88:89]
	v_add_f64 v[28:29], v[92:93], v[100:101]
	v_add_f64 v[92:93], v[92:93], -v[100:101]
	v_add_f64 v[100:101], v[80:81], v[88:89]
	v_add_f64 v[80:81], v[80:81], -v[88:89]
	;; [unrolled: 2-line block ×3, first 2 shown]
	v_fma_f64 v[102:103], v[84:85], s[0:1], v[98:99]
	v_fma_f64 v[100:101], v[100:101], -0.5, v[74:75]
	v_add_f64 v[74:75], v[82:83], v[90:91]
	v_add_f64 v[82:83], v[82:83], -v[90:91]
	v_fma_f64 v[90:91], v[74:75], -0.5, v[72:73]
	v_fma_f64 v[72:73], v[82:83], s[0:1], v[100:101]
	v_fma_f64 v[82:83], v[82:83], s[2:3], v[100:101]
	;; [unrolled: 1-line block ×3, first 2 shown]
	v_mul_f64 v[74:75], v[72:73], s[2:3]
	v_mul_f64 v[72:73], v[72:73], 0.5
	v_fma_f64 v[80:81], v[80:81], s[0:1], v[90:91]
	v_fma_f64 v[78:79], v[76:77], 0.5, v[74:75]
	v_fma_f64 v[88:89], v[76:77], s[0:1], v[72:73]
	v_fma_f64 v[76:77], v[86:87], s[2:3], v[96:97]
	v_fma_f64 v[86:87], v[86:87], s[0:1], v[96:97]
	v_add_f64 v[74:75], v[102:103], v[88:89]
	v_add_f64 v[72:73], v[76:77], v[78:79]
	v_add_f64 v[76:77], v[76:77], -v[78:79]
	v_add_f64 v[78:79], v[102:103], -v[88:89]
	v_fma_f64 v[88:89], v[84:85], s[2:3], v[98:99]
	v_mul_f64 v[84:85], v[82:83], s[2:3]
	v_mul_f64 v[82:83], v[82:83], -0.5
	v_fma_f64 v[84:85], v[80:81], -0.5, v[84:85]
	v_fma_f64 v[90:91], v[80:81], s[0:1], v[82:83]
	v_add_f64 v[80:81], v[86:87], v[84:85]
	v_add_f64 v[82:83], v[88:89], v[90:91]
	v_add_f64 v[84:85], v[86:87], -v[84:85]
	v_add_f64 v[86:87], v[88:89], -v[90:91]
	buffer_load_dword v88, off, s[24:27], 0 offset:1072 ; 4-byte Folded Reload
	s_waitcnt vmcnt(0)
	ds_write_b128 v88, v[28:31]
	ds_write_b128 v88, v[72:75] offset:160
	ds_write_b128 v88, v[80:83] offset:320
	;; [unrolled: 1-line block ×5, first 2 shown]
	v_add_f64 v[28:29], v[54:55], v[64:65]
	v_fma_f64 v[72:73], v[28:29], -0.5, v[24:25]
	v_add_f64 v[28:29], v[58:59], v[66:67]
	v_add_f64 v[24:25], v[24:25], v[54:55]
	v_fma_f64 v[74:75], v[28:29], -0.5, v[26:27]
	v_add_f64 v[28:29], v[24:25], v[64:65]
	v_add_f64 v[24:25], v[52:53], v[62:63]
	;; [unrolled: 1-line block ×3, first 2 shown]
	v_add_f64 v[64:65], v[54:55], -v[64:65]
	v_add_f64 v[76:77], v[24:25], v[70:71]
	v_add_f64 v[24:25], v[56:57], v[60:61]
	;; [unrolled: 1-line block ×3, first 2 shown]
	v_add_f64 v[66:67], v[58:59], -v[66:67]
	v_add_f64 v[78:79], v[24:25], v[68:69]
	v_add_f64 v[24:25], v[28:29], v[76:77]
	v_add_f64 v[28:29], v[28:29], -v[76:77]
	v_add_f64 v[76:77], v[60:61], v[68:69]
	v_add_f64 v[60:61], v[60:61], -v[68:69]
	;; [unrolled: 2-line block ×3, first 2 shown]
	v_fma_f64 v[78:79], v[64:65], s[0:1], v[74:75]
	v_fma_f64 v[76:77], v[76:77], -0.5, v[56:57]
	v_add_f64 v[56:57], v[62:63], v[70:71]
	v_add_f64 v[62:63], v[62:63], -v[70:71]
	v_fma_f64 v[70:71], v[56:57], -0.5, v[52:53]
	v_fma_f64 v[52:53], v[62:63], s[0:1], v[76:77]
	v_fma_f64 v[62:63], v[62:63], s[2:3], v[76:77]
	;; [unrolled: 1-line block ×3, first 2 shown]
	v_mul_f64 v[54:55], v[52:53], s[2:3]
	v_mul_f64 v[52:53], v[52:53], 0.5
	v_fma_f64 v[60:61], v[60:61], s[0:1], v[70:71]
	v_fma_f64 v[58:59], v[56:57], 0.5, v[54:55]
	v_fma_f64 v[68:69], v[56:57], s[0:1], v[52:53]
	v_fma_f64 v[56:57], v[66:67], s[2:3], v[72:73]
	;; [unrolled: 1-line block ×3, first 2 shown]
	v_add_f64 v[54:55], v[78:79], v[68:69]
	v_add_f64 v[52:53], v[56:57], v[58:59]
	v_add_f64 v[56:57], v[56:57], -v[58:59]
	v_add_f64 v[58:59], v[78:79], -v[68:69]
	v_fma_f64 v[68:69], v[64:65], s[2:3], v[74:75]
	v_mul_f64 v[64:65], v[62:63], s[2:3]
	v_mul_f64 v[62:63], v[62:63], -0.5
	v_fma_f64 v[64:65], v[60:61], -0.5, v[64:65]
	v_fma_f64 v[70:71], v[60:61], s[0:1], v[62:63]
	v_add_f64 v[60:61], v[66:67], v[64:65]
	v_add_f64 v[62:63], v[68:69], v[70:71]
	v_add_f64 v[64:65], v[66:67], -v[64:65]
	v_add_f64 v[66:67], v[68:69], -v[70:71]
	buffer_load_dword v68, off, s[24:27], 0 offset:1068 ; 4-byte Folded Reload
	s_waitcnt vmcnt(0)
	ds_write_b128 v68, v[24:27]
	ds_write_b128 v68, v[52:55] offset:160
	ds_write_b128 v68, v[60:63] offset:320
	;; [unrolled: 1-line block ×5, first 2 shown]
	v_add_f64 v[24:25], v[34:35], v[44:45]
	v_fma_f64 v[52:53], v[24:25], -0.5, v[20:21]
	v_add_f64 v[24:25], v[38:39], v[46:47]
	v_add_f64 v[20:21], v[20:21], v[34:35]
	v_fma_f64 v[54:55], v[24:25], -0.5, v[22:23]
	v_add_f64 v[24:25], v[20:21], v[44:45]
	v_add_f64 v[20:21], v[32:33], v[42:43]
	;; [unrolled: 1-line block ×3, first 2 shown]
	v_add_f64 v[38:39], v[38:39], -v[46:47]
	v_add_f64 v[44:45], v[34:35], -v[44:45]
	v_add_f64 v[28:29], v[20:21], v[50:51]
	v_add_f64 v[20:21], v[36:37], v[40:41]
	;; [unrolled: 1-line block ×5, first 2 shown]
	v_add_f64 v[24:25], v[24:25], -v[28:29]
	v_add_f64 v[28:29], v[40:41], v[48:49]
	v_add_f64 v[40:41], v[40:41], -v[48:49]
	v_add_f64 v[22:23], v[26:27], v[30:31]
	v_add_f64 v[26:27], v[26:27], -v[30:31]
	v_fma_f64 v[36:37], v[28:29], -0.5, v[36:37]
	v_add_f64 v[28:29], v[42:43], v[50:51]
	v_add_f64 v[42:43], v[42:43], -v[50:51]
	v_fma_f64 v[50:51], v[44:45], s[0:1], v[54:55]
	v_fma_f64 v[44:45], v[44:45], s[2:3], v[54:55]
	v_fma_f64 v[46:47], v[28:29], -0.5, v[32:33]
	v_fma_f64 v[28:29], v[42:43], s[0:1], v[36:37]
	v_fma_f64 v[36:37], v[42:43], s[2:3], v[36:37]
	;; [unrolled: 1-line block ×4, first 2 shown]
	v_mul_f64 v[30:31], v[28:29], s[2:3]
	v_mul_f64 v[28:29], v[28:29], 0.5
	v_fma_f64 v[34:35], v[32:33], 0.5, v[30:31]
	v_fma_f64 v[48:49], v[32:33], s[0:1], v[28:29]
	v_fma_f64 v[32:33], v[38:39], s[2:3], v[52:53]
	;; [unrolled: 1-line block ×3, first 2 shown]
	v_mul_f64 v[40:41], v[36:37], s[2:3]
	v_mul_f64 v[36:37], v[36:37], -0.5
	v_add_f64 v[30:31], v[50:51], v[48:49]
	v_add_f64 v[28:29], v[32:33], v[34:35]
	v_add_f64 v[32:33], v[32:33], -v[34:35]
	v_fma_f64 v[40:41], v[38:39], -0.5, v[40:41]
	v_fma_f64 v[46:47], v[38:39], s[0:1], v[36:37]
	v_add_f64 v[34:35], v[50:51], -v[48:49]
	v_add_f64 v[36:37], v[42:43], v[40:41]
	v_add_f64 v[38:39], v[44:45], v[46:47]
	v_add_f64 v[40:41], v[42:43], -v[40:41]
	v_add_f64 v[42:43], v[44:45], -v[46:47]
	buffer_load_dword v44, off, s[24:27], 0 offset:1064 ; 4-byte Folded Reload
	s_waitcnt vmcnt(0)
	ds_write_b128 v44, v[20:23]
	ds_write_b128 v44, v[28:31] offset:160
	ds_write_b128 v44, v[36:39] offset:320
	;; [unrolled: 1-line block ×5, first 2 shown]
	s_waitcnt lgkmcnt(0)
	; wave barrier
	s_waitcnt lgkmcnt(0)
	ds_read_b128 v[20:23], v160 offset:5760
	s_waitcnt lgkmcnt(0)
	v_mul_f64 v[24:25], v[14:15], v[22:23]
	v_fma_f64 v[68:69], v[12:13], v[20:21], v[24:25]
	v_mul_f64 v[20:21], v[14:15], v[20:21]
	v_fma_f64 v[70:71], v[12:13], v[22:23], -v[20:21]
	ds_read_b128 v[20:23], v160 offset:6720
	s_waitcnt lgkmcnt(0)
	v_mul_f64 v[24:25], v[14:15], v[22:23]
	v_mul_f64 v[14:15], v[14:15], v[20:21]
	v_fma_f64 v[92:93], v[12:13], v[20:21], v[24:25]
	v_fma_f64 v[94:95], v[12:13], v[22:23], -v[14:15]
	ds_read_b128 v[12:15], v160 offset:11520
	s_waitcnt lgkmcnt(0)
	v_mul_f64 v[20:21], v[10:11], v[14:15]
	v_fma_f64 v[72:73], v[8:9], v[12:13], v[20:21]
	v_mul_f64 v[12:13], v[10:11], v[12:13]
	v_fma_f64 v[74:75], v[8:9], v[14:15], -v[12:13]
	ds_read_b128 v[12:15], v160 offset:12480
	s_waitcnt lgkmcnt(0)
	v_mul_f64 v[20:21], v[10:11], v[14:15]
	v_mul_f64 v[10:11], v[10:11], v[12:13]
	v_fma_f64 v[96:97], v[8:9], v[12:13], v[20:21]
	v_fma_f64 v[98:99], v[8:9], v[14:15], -v[10:11]
	;; [unrolled: 12-line block ×4, first 2 shown]
	ds_read_b128 v[0:3], v160 offset:28800
	s_waitcnt lgkmcnt(0)
	v_mul_f64 v[4:5], v[18:19], v[2:3]
	v_fma_f64 v[84:85], v[16:17], v[0:1], v[4:5]
	v_mul_f64 v[0:1], v[18:19], v[0:1]
	v_fma_f64 v[86:87], v[16:17], v[2:3], -v[0:1]
	ds_read_b128 v[0:3], v160 offset:29760
	s_waitcnt lgkmcnt(0)
	v_mul_f64 v[4:5], v[18:19], v[2:3]
	v_fma_f64 v[108:109], v[16:17], v[0:1], v[4:5]
	v_mul_f64 v[0:1], v[18:19], v[0:1]
	v_fma_f64 v[110:111], v[16:17], v[2:3], -v[0:1]
	ds_read_b128 v[0:3], v160 offset:7680
	buffer_load_dword v6, off, s[24:27], 0 offset:1136 ; 4-byte Folded Reload
	buffer_load_dword v7, off, s[24:27], 0 offset:1140 ; 4-byte Folded Reload
	buffer_load_dword v8, off, s[24:27], 0 offset:1144 ; 4-byte Folded Reload
	buffer_load_dword v9, off, s[24:27], 0 offset:1148 ; 4-byte Folded Reload
	s_waitcnt vmcnt(0) lgkmcnt(0)
	v_mul_f64 v[4:5], v[8:9], v[2:3]
	v_fma_f64 v[116:117], v[6:7], v[0:1], v[4:5]
	v_mul_f64 v[0:1], v[8:9], v[0:1]
	v_fma_f64 v[118:119], v[6:7], v[2:3], -v[0:1]
	ds_read_b128 v[0:3], v160 offset:13440
	buffer_load_dword v6, off, s[24:27], 0 offset:1116 ; 4-byte Folded Reload
	buffer_load_dword v7, off, s[24:27], 0 offset:1120 ; 4-byte Folded Reload
	buffer_load_dword v8, off, s[24:27], 0 offset:1124 ; 4-byte Folded Reload
	buffer_load_dword v9, off, s[24:27], 0 offset:1128 ; 4-byte Folded Reload
	s_waitcnt vmcnt(0) lgkmcnt(0)
	;; [unrolled: 10-line block ×20, first 2 shown]
	v_mul_f64 v[20:21], v[66:67], v[2:3]
	v_fma_f64 v[22:23], v[64:65], v[0:1], v[20:21]
	v_mul_f64 v[0:1], v[66:67], v[0:1]
	v_fma_f64 v[20:21], v[64:65], v[2:3], -v[0:1]
	v_add_f64 v[64:65], v[72:73], v[80:81]
	ds_read_b128 v[0:3], v160
	s_waitcnt lgkmcnt(0)
	v_fma_f64 v[88:89], v[64:65], -0.5, v[0:1]
	v_add_f64 v[64:65], v[74:75], v[82:83]
	v_add_f64 v[0:1], v[0:1], v[72:73]
	v_fma_f64 v[90:91], v[64:65], -0.5, v[2:3]
	v_add_f64 v[64:65], v[0:1], v[80:81]
	v_add_f64 v[0:1], v[68:69], v[76:77]
	;; [unrolled: 1-line block ×3, first 2 shown]
	v_add_f64 v[80:81], v[72:73], -v[80:81]
	v_add_f64 v[112:113], v[0:1], v[84:85]
	v_add_f64 v[0:1], v[70:71], v[78:79]
	;; [unrolled: 1-line block ×3, first 2 shown]
	v_add_f64 v[82:83], v[74:75], -v[82:83]
	v_add_f64 v[114:115], v[0:1], v[86:87]
	v_add_f64 v[0:1], v[64:65], v[112:113]
	v_add_f64 v[64:65], v[64:65], -v[112:113]
	v_add_f64 v[112:113], v[78:79], v[86:87]
	v_add_f64 v[78:79], v[78:79], -v[86:87]
	;; [unrolled: 2-line block ×3, first 2 shown]
	v_fma_f64 v[114:115], v[80:81], s[0:1], v[90:91]
	v_fma_f64 v[112:113], v[112:113], -0.5, v[70:71]
	v_add_f64 v[70:71], v[76:77], v[84:85]
	v_add_f64 v[76:77], v[76:77], -v[84:85]
	v_fma_f64 v[84:85], v[70:71], -0.5, v[68:69]
	v_fma_f64 v[68:69], v[76:77], s[0:1], v[112:113]
	v_fma_f64 v[76:77], v[76:77], s[2:3], v[112:113]
	;; [unrolled: 1-line block ×3, first 2 shown]
	v_mul_f64 v[70:71], v[68:69], s[2:3]
	v_mul_f64 v[68:69], v[68:69], 0.5
	v_fma_f64 v[78:79], v[78:79], s[0:1], v[84:85]
	v_fma_f64 v[74:75], v[72:73], 0.5, v[70:71]
	v_fma_f64 v[86:87], v[72:73], s[0:1], v[68:69]
	v_fma_f64 v[72:73], v[82:83], s[2:3], v[88:89]
	;; [unrolled: 1-line block ×3, first 2 shown]
	v_add_f64 v[88:89], v[96:97], v[104:105]
	v_add_f64 v[70:71], v[114:115], v[86:87]
	;; [unrolled: 1-line block ×3, first 2 shown]
	v_add_f64 v[72:73], v[72:73], -v[74:75]
	v_add_f64 v[74:75], v[114:115], -v[86:87]
	v_fma_f64 v[86:87], v[80:81], s[2:3], v[90:91]
	v_mul_f64 v[80:81], v[76:77], s[2:3]
	v_mul_f64 v[76:77], v[76:77], -0.5
	v_fma_f64 v[80:81], v[78:79], -0.5, v[80:81]
	v_fma_f64 v[84:85], v[78:79], s[0:1], v[76:77]
	v_add_f64 v[76:77], v[82:83], v[80:81]
	v_add_f64 v[78:79], v[86:87], v[84:85]
	v_add_f64 v[80:81], v[82:83], -v[80:81]
	v_add_f64 v[82:83], v[86:87], -v[84:85]
	ds_read_b128 v[84:87], v160 offset:960
	s_waitcnt lgkmcnt(0)
	v_fma_f64 v[112:113], v[88:89], -0.5, v[84:85]
	v_add_f64 v[88:89], v[98:99], v[106:107]
	v_add_f64 v[84:85], v[84:85], v[96:97]
	v_fma_f64 v[114:115], v[88:89], -0.5, v[86:87]
	v_add_f64 v[88:89], v[84:85], v[104:105]
	v_add_f64 v[84:85], v[92:93], v[100:101]
	;; [unrolled: 1-line block ×3, first 2 shown]
	v_add_f64 v[104:105], v[96:97], -v[104:105]
	v_add_f64 v[136:137], v[84:85], v[108:109]
	v_add_f64 v[84:85], v[94:95], v[102:103]
	v_add_f64 v[90:91], v[86:87], v[106:107]
	v_add_f64 v[106:107], v[98:99], -v[106:107]
	v_add_f64 v[138:139], v[84:85], v[110:111]
	v_add_f64 v[84:85], v[88:89], v[136:137]
	v_add_f64 v[88:89], v[88:89], -v[136:137]
	v_add_f64 v[136:137], v[102:103], v[110:111]
	v_add_f64 v[102:103], v[102:103], -v[110:111]
	;; [unrolled: 2-line block ×3, first 2 shown]
	v_fma_f64 v[138:139], v[104:105], s[0:1], v[114:115]
	v_fma_f64 v[136:137], v[136:137], -0.5, v[94:95]
	v_add_f64 v[94:95], v[100:101], v[108:109]
	v_add_f64 v[100:101], v[100:101], -v[108:109]
	v_fma_f64 v[108:109], v[94:95], -0.5, v[92:93]
	v_fma_f64 v[92:93], v[100:101], s[0:1], v[136:137]
	v_fma_f64 v[100:101], v[100:101], s[2:3], v[136:137]
	v_fma_f64 v[96:97], v[102:103], s[2:3], v[108:109]
	v_mul_f64 v[94:95], v[92:93], s[2:3]
	v_mul_f64 v[92:93], v[92:93], 0.5
	v_fma_f64 v[102:103], v[102:103], s[0:1], v[108:109]
	v_fma_f64 v[98:99], v[96:97], 0.5, v[94:95]
	v_fma_f64 v[110:111], v[96:97], s[0:1], v[92:93]
	v_fma_f64 v[96:97], v[106:107], s[2:3], v[112:113]
	;; [unrolled: 1-line block ×3, first 2 shown]
	v_add_f64 v[112:113], v[120:121], v[128:129]
	v_add_f64 v[94:95], v[138:139], v[110:111]
	v_add_f64 v[92:93], v[96:97], v[98:99]
	v_add_f64 v[96:97], v[96:97], -v[98:99]
	v_add_f64 v[98:99], v[138:139], -v[110:111]
	v_fma_f64 v[110:111], v[104:105], s[2:3], v[114:115]
	v_mul_f64 v[104:105], v[100:101], s[2:3]
	v_mul_f64 v[100:101], v[100:101], -0.5
	v_fma_f64 v[104:105], v[102:103], -0.5, v[104:105]
	v_fma_f64 v[108:109], v[102:103], s[0:1], v[100:101]
	v_add_f64 v[100:101], v[106:107], v[104:105]
	v_add_f64 v[102:103], v[110:111], v[108:109]
	v_add_f64 v[104:105], v[106:107], -v[104:105]
	v_add_f64 v[106:107], v[110:111], -v[108:109]
	ds_read_b128 v[108:111], v160 offset:1920
	s_waitcnt lgkmcnt(0)
	v_fma_f64 v[136:137], v[112:113], -0.5, v[108:109]
	v_add_f64 v[112:113], v[122:123], v[130:131]
	v_add_f64 v[108:109], v[108:109], v[120:121]
	v_fma_f64 v[138:139], v[112:113], -0.5, v[110:111]
	v_add_f64 v[112:113], v[108:109], v[128:129]
	v_add_f64 v[108:109], v[116:117], v[124:125]
	;; [unrolled: 1-line block ×3, first 2 shown]
	v_add_f64 v[128:129], v[120:121], -v[128:129]
	v_add_f64 v[140:141], v[108:109], v[132:133]
	v_add_f64 v[108:109], v[118:119], v[126:127]
	;; [unrolled: 1-line block ×3, first 2 shown]
	v_add_f64 v[130:131], v[122:123], -v[130:131]
	v_add_f64 v[142:143], v[108:109], v[134:135]
	v_add_f64 v[108:109], v[112:113], v[140:141]
	v_add_f64 v[112:113], v[112:113], -v[140:141]
	v_add_f64 v[140:141], v[126:127], v[134:135]
	v_add_f64 v[126:127], v[126:127], -v[134:135]
	;; [unrolled: 2-line block ×3, first 2 shown]
	v_fma_f64 v[142:143], v[128:129], s[0:1], v[138:139]
	v_fma_f64 v[140:141], v[140:141], -0.5, v[118:119]
	v_add_f64 v[118:119], v[124:125], v[132:133]
	v_add_f64 v[124:125], v[124:125], -v[132:133]
	v_fma_f64 v[132:133], v[118:119], -0.5, v[116:117]
	v_fma_f64 v[116:117], v[124:125], s[0:1], v[140:141]
	v_fma_f64 v[124:125], v[124:125], s[2:3], v[140:141]
	;; [unrolled: 1-line block ×3, first 2 shown]
	v_mul_f64 v[118:119], v[116:117], s[2:3]
	v_mul_f64 v[116:117], v[116:117], 0.5
	v_fma_f64 v[126:127], v[126:127], s[0:1], v[132:133]
	v_fma_f64 v[122:123], v[120:121], 0.5, v[118:119]
	v_fma_f64 v[134:135], v[120:121], s[0:1], v[116:117]
	v_fma_f64 v[120:121], v[130:131], s[2:3], v[136:137]
	;; [unrolled: 1-line block ×3, first 2 shown]
	v_add_f64 v[118:119], v[142:143], v[134:135]
	v_add_f64 v[116:117], v[120:121], v[122:123]
	v_add_f64 v[120:121], v[120:121], -v[122:123]
	v_add_f64 v[122:123], v[142:143], -v[134:135]
	v_fma_f64 v[134:135], v[128:129], s[2:3], v[138:139]
	v_mul_f64 v[128:129], v[124:125], s[2:3]
	v_mul_f64 v[124:125], v[124:125], -0.5
	v_fma_f64 v[128:129], v[126:127], -0.5, v[128:129]
	v_fma_f64 v[132:133], v[126:127], s[0:1], v[124:125]
	v_add_f64 v[124:125], v[130:131], v[128:129]
	v_add_f64 v[126:127], v[134:135], v[132:133]
	v_add_f64 v[128:129], v[130:131], -v[128:129]
	v_add_f64 v[130:131], v[134:135], -v[132:133]
	ds_read_b128 v[132:135], v160 offset:4800
	ds_read_b128 v[136:139], v160 offset:2880
	;; [unrolled: 1-line block ×3, first 2 shown]
	s_waitcnt lgkmcnt(0)
	; wave barrier
	s_waitcnt lgkmcnt(0)
	ds_write_b128 v160, v[0:3]
	ds_write_b128 v160, v[68:71] offset:960
	ds_write_b128 v160, v[76:79] offset:1920
	;; [unrolled: 1-line block ×17, first 2 shown]
	v_add_f64 v[0:1], v[48:49], v[56:57]
	v_add_f64 v[2:3], v[138:139], v[50:51]
	v_fma_f64 v[68:69], v[0:1], -0.5, v[136:137]
	v_add_f64 v[0:1], v[50:51], v[58:59]
	v_add_f64 v[66:67], v[2:3], v[58:59]
	v_add_f64 v[58:59], v[50:51], -v[58:59]
	v_fma_f64 v[70:71], v[0:1], -0.5, v[138:139]
	v_add_f64 v[0:1], v[136:137], v[48:49]
	v_add_f64 v[64:65], v[0:1], v[56:57]
	;; [unrolled: 1-line block ×3, first 2 shown]
	v_add_f64 v[56:57], v[48:49], -v[56:57]
	v_add_f64 v[72:73], v[0:1], v[62:63]
	v_add_f64 v[0:1], v[46:47], v[52:53]
	;; [unrolled: 1-line block ×4, first 2 shown]
	v_add_f64 v[64:65], v[64:65], -v[72:73]
	v_add_f64 v[72:73], v[52:53], v[60:61]
	v_add_f64 v[52:53], v[52:53], -v[60:61]
	v_add_f64 v[2:3], v[66:67], v[74:75]
	v_add_f64 v[66:67], v[66:67], -v[74:75]
	v_fma_f64 v[74:75], v[56:57], s[0:1], v[70:71]
	v_fma_f64 v[72:73], v[72:73], -0.5, v[46:47]
	v_add_f64 v[46:47], v[54:55], v[62:63]
	v_add_f64 v[54:55], v[54:55], -v[62:63]
	v_fma_f64 v[62:63], v[46:47], -0.5, v[44:45]
	v_fma_f64 v[44:45], v[54:55], s[0:1], v[72:73]
	v_fma_f64 v[54:55], v[54:55], s[2:3], v[72:73]
	;; [unrolled: 1-line block ×3, first 2 shown]
	v_mul_f64 v[46:47], v[44:45], s[2:3]
	v_mul_f64 v[44:45], v[44:45], 0.5
	v_fma_f64 v[52:53], v[52:53], s[0:1], v[62:63]
	v_fma_f64 v[50:51], v[48:49], 0.5, v[46:47]
	v_fma_f64 v[60:61], v[48:49], s[0:1], v[44:45]
	v_fma_f64 v[48:49], v[58:59], s[2:3], v[68:69]
	;; [unrolled: 1-line block ×3, first 2 shown]
	v_add_f64 v[46:47], v[74:75], v[60:61]
	v_add_f64 v[44:45], v[48:49], v[50:51]
	v_add_f64 v[48:49], v[48:49], -v[50:51]
	v_add_f64 v[50:51], v[74:75], -v[60:61]
	v_fma_f64 v[60:61], v[56:57], s[2:3], v[70:71]
	v_mul_f64 v[56:57], v[54:55], s[2:3]
	v_mul_f64 v[54:55], v[54:55], -0.5
	v_fma_f64 v[56:57], v[52:53], -0.5, v[56:57]
	v_fma_f64 v[62:63], v[52:53], s[0:1], v[54:55]
	v_add_f64 v[52:53], v[58:59], v[56:57]
	v_add_f64 v[54:55], v[60:61], v[62:63]
	v_add_f64 v[56:57], v[58:59], -v[56:57]
	v_add_f64 v[58:59], v[60:61], -v[62:63]
	ds_write_b128 v190, v[0:3] offset:17280
	ds_write_b128 v190, v[44:47] offset:18240
	;; [unrolled: 1-line block ×6, first 2 shown]
	v_add_f64 v[0:1], v[26:27], v[36:37]
	v_add_f64 v[2:3], v[142:143], v[30:31]
	v_fma_f64 v[48:49], v[0:1], -0.5, v[140:141]
	v_add_f64 v[0:1], v[30:31], v[38:39]
	v_add_f64 v[46:47], v[2:3], v[38:39]
	v_add_f64 v[38:39], v[30:31], -v[38:39]
	v_fma_f64 v[50:51], v[0:1], -0.5, v[142:143]
	v_add_f64 v[0:1], v[140:141], v[26:27]
	v_add_f64 v[44:45], v[0:1], v[36:37]
	;; [unrolled: 1-line block ×3, first 2 shown]
	v_add_f64 v[36:37], v[26:27], -v[36:37]
	v_add_f64 v[52:53], v[0:1], v[42:43]
	v_add_f64 v[0:1], v[28:29], v[32:33]
	;; [unrolled: 1-line block ×4, first 2 shown]
	v_add_f64 v[44:45], v[44:45], -v[52:53]
	v_add_f64 v[52:53], v[32:33], v[40:41]
	v_add_f64 v[32:33], v[32:33], -v[40:41]
	v_add_f64 v[2:3], v[46:47], v[54:55]
	v_add_f64 v[46:47], v[46:47], -v[54:55]
	v_fma_f64 v[54:55], v[36:37], s[0:1], v[50:51]
	v_fma_f64 v[52:53], v[52:53], -0.5, v[28:29]
	v_add_f64 v[28:29], v[34:35], v[42:43]
	v_add_f64 v[34:35], v[34:35], -v[42:43]
	v_fma_f64 v[42:43], v[28:29], -0.5, v[24:25]
	v_fma_f64 v[24:25], v[34:35], s[0:1], v[52:53]
	v_fma_f64 v[34:35], v[34:35], s[2:3], v[52:53]
	;; [unrolled: 1-line block ×3, first 2 shown]
	v_mul_f64 v[26:27], v[24:25], s[2:3]
	v_mul_f64 v[24:25], v[24:25], 0.5
	v_fma_f64 v[32:33], v[32:33], s[0:1], v[42:43]
	v_fma_f64 v[30:31], v[28:29], 0.5, v[26:27]
	v_fma_f64 v[40:41], v[28:29], s[0:1], v[24:25]
	v_fma_f64 v[28:29], v[38:39], s[2:3], v[48:49]
	;; [unrolled: 1-line block ×3, first 2 shown]
	v_add_f64 v[26:27], v[54:55], v[40:41]
	v_add_f64 v[24:25], v[28:29], v[30:31]
	v_add_f64 v[28:29], v[28:29], -v[30:31]
	v_add_f64 v[30:31], v[54:55], -v[40:41]
	v_fma_f64 v[40:41], v[36:37], s[2:3], v[50:51]
	v_mul_f64 v[36:37], v[34:35], s[2:3]
	v_mul_f64 v[34:35], v[34:35], -0.5
	v_fma_f64 v[36:37], v[32:33], -0.5, v[36:37]
	v_fma_f64 v[42:43], v[32:33], s[0:1], v[34:35]
	v_add_f64 v[32:33], v[38:39], v[36:37]
	v_add_f64 v[34:35], v[40:41], v[42:43]
	v_add_f64 v[36:37], v[38:39], -v[36:37]
	v_add_f64 v[38:39], v[40:41], -v[42:43]
	buffer_load_dword v40, off, s[24:27], 0 offset:1412 ; 4-byte Folded Reload
	s_waitcnt vmcnt(0)
	ds_write_b128 v40, v[0:3] offset:23040
	ds_write_b128 v40, v[24:27] offset:24000
	;; [unrolled: 1-line block ×6, first 2 shown]
	v_add_f64 v[0:1], v[6:7], v[16:17]
	v_add_f64 v[2:3], v[134:135], v[10:11]
	v_fma_f64 v[28:29], v[0:1], -0.5, v[132:133]
	v_add_f64 v[0:1], v[10:11], v[18:19]
	v_add_f64 v[26:27], v[2:3], v[18:19]
	v_add_f64 v[18:19], v[10:11], -v[18:19]
	v_fma_f64 v[30:31], v[0:1], -0.5, v[134:135]
	v_add_f64 v[0:1], v[132:133], v[6:7]
	v_add_f64 v[24:25], v[0:1], v[16:17]
	;; [unrolled: 1-line block ×3, first 2 shown]
	v_add_f64 v[16:17], v[6:7], -v[16:17]
	v_add_f64 v[32:33], v[0:1], v[22:23]
	v_add_f64 v[0:1], v[8:9], v[12:13]
	;; [unrolled: 1-line block ×4, first 2 shown]
	v_add_f64 v[24:25], v[24:25], -v[32:33]
	v_add_f64 v[32:33], v[12:13], v[20:21]
	v_add_f64 v[12:13], v[12:13], -v[20:21]
	v_add_f64 v[2:3], v[26:27], v[34:35]
	v_add_f64 v[26:27], v[26:27], -v[34:35]
	v_fma_f64 v[34:35], v[16:17], s[0:1], v[30:31]
	v_fma_f64 v[32:33], v[32:33], -0.5, v[8:9]
	v_add_f64 v[8:9], v[14:15], v[22:23]
	v_add_f64 v[14:15], v[14:15], -v[22:23]
	v_fma_f64 v[22:23], v[8:9], -0.5, v[4:5]
	v_fma_f64 v[4:5], v[14:15], s[0:1], v[32:33]
	v_fma_f64 v[14:15], v[14:15], s[2:3], v[32:33]
	v_fma_f64 v[8:9], v[12:13], s[2:3], v[22:23]
	v_mul_f64 v[6:7], v[4:5], s[2:3]
	v_mul_f64 v[4:5], v[4:5], 0.5
	v_fma_f64 v[12:13], v[12:13], s[0:1], v[22:23]
	v_fma_f64 v[10:11], v[8:9], 0.5, v[6:7]
	v_fma_f64 v[20:21], v[8:9], s[0:1], v[4:5]
	v_fma_f64 v[8:9], v[18:19], s[2:3], v[28:29]
	;; [unrolled: 1-line block ×3, first 2 shown]
	v_add_f64 v[6:7], v[34:35], v[20:21]
	v_add_f64 v[4:5], v[8:9], v[10:11]
	v_add_f64 v[8:9], v[8:9], -v[10:11]
	v_add_f64 v[10:11], v[34:35], -v[20:21]
	v_fma_f64 v[20:21], v[16:17], s[2:3], v[30:31]
	v_mul_f64 v[16:17], v[14:15], s[2:3]
	v_mul_f64 v[14:15], v[14:15], -0.5
	v_fma_f64 v[16:17], v[12:13], -0.5, v[16:17]
	v_fma_f64 v[22:23], v[12:13], s[0:1], v[14:15]
	v_add_f64 v[12:13], v[18:19], v[16:17]
	v_add_f64 v[14:15], v[20:21], v[22:23]
	v_add_f64 v[16:17], v[18:19], -v[16:17]
	v_add_f64 v[18:19], v[20:21], -v[22:23]
	buffer_load_dword v20, off, s[24:27], 0 offset:1408 ; 4-byte Folded Reload
	s_waitcnt vmcnt(0)
	ds_write_b128 v20, v[0:3] offset:28800
	ds_write_b128 v20, v[4:7] offset:29760
	ds_write_b128 v20, v[12:15] offset:30720
	ds_write_b128 v20, v[24:27] offset:31680
	ds_write_b128 v20, v[8:11] offset:32640
	ds_write_b128 v20, v[16:19] offset:33600
	s_waitcnt lgkmcnt(0)
	; wave barrier
	s_waitcnt lgkmcnt(0)
	ds_read_b128 v[0:3], v160 offset:5760
	buffer_load_dword v10, off, s[24:27], 0 offset:1464 ; 4-byte Folded Reload
	buffer_load_dword v11, off, s[24:27], 0 offset:1468 ; 4-byte Folded Reload
	buffer_load_dword v12, off, s[24:27], 0 offset:1472 ; 4-byte Folded Reload
	buffer_load_dword v13, off, s[24:27], 0 offset:1476 ; 4-byte Folded Reload
	s_waitcnt vmcnt(0) lgkmcnt(0)
	v_mul_f64 v[4:5], v[12:13], v[2:3]
	v_fma_f64 v[8:9], v[10:11], v[0:1], v[4:5]
	v_mul_f64 v[0:1], v[12:13], v[0:1]
	v_fma_f64 v[10:11], v[10:11], v[2:3], -v[0:1]
	ds_read_b128 v[0:3], v160 offset:11520
	buffer_load_dword v14, off, s[24:27], 0 offset:1448 ; 4-byte Folded Reload
	buffer_load_dword v15, off, s[24:27], 0 offset:1452 ; 4-byte Folded Reload
	buffer_load_dword v16, off, s[24:27], 0 offset:1456 ; 4-byte Folded Reload
	buffer_load_dword v17, off, s[24:27], 0 offset:1460 ; 4-byte Folded Reload
	s_waitcnt vmcnt(0) lgkmcnt(0)
	v_mul_f64 v[4:5], v[16:17], v[2:3]
	v_fma_f64 v[12:13], v[14:15], v[0:1], v[4:5]
	v_mul_f64 v[0:1], v[16:17], v[0:1]
	v_fma_f64 v[14:15], v[14:15], v[2:3], -v[0:1]
	;; [unrolled: 10-line block ×20, first 2 shown]
	ds_read_b128 v[0:3], v160 offset:9600
	s_waitcnt lgkmcnt(0)
	v_mul_f64 v[4:5], v[194:195], v[2:3]
	v_fma_f64 v[52:53], v[192:193], v[0:1], v[4:5]
	v_mul_f64 v[0:1], v[194:195], v[0:1]
	v_fma_f64 v[56:57], v[192:193], v[2:3], -v[0:1]
	ds_read_b128 v[0:3], v160 offset:15360
	buffer_load_dword v28, off, s[24:27], 0 offset:1768 ; 4-byte Folded Reload
	buffer_load_dword v29, off, s[24:27], 0 offset:1772 ; 4-byte Folded Reload
	buffer_load_dword v30, off, s[24:27], 0 offset:1776 ; 4-byte Folded Reload
	buffer_load_dword v31, off, s[24:27], 0 offset:1780 ; 4-byte Folded Reload
	s_waitcnt vmcnt(0) lgkmcnt(0)
	v_mul_f64 v[4:5], v[30:31], v[2:3]
	v_fma_f64 v[54:55], v[28:29], v[0:1], v[4:5]
	v_mul_f64 v[0:1], v[30:31], v[0:1]
	v_fma_f64 v[58:59], v[28:29], v[2:3], -v[0:1]
	ds_read_b128 v[0:3], v160 offset:21120
	buffer_load_dword v28, off, s[24:27], 0 offset:1752 ; 4-byte Folded Reload
	buffer_load_dword v29, off, s[24:27], 0 offset:1756 ; 4-byte Folded Reload
	buffer_load_dword v30, off, s[24:27], 0 offset:1760 ; 4-byte Folded Reload
	buffer_load_dword v31, off, s[24:27], 0 offset:1764 ; 4-byte Folded Reload
	s_waitcnt vmcnt(0) lgkmcnt(0)
	v_mul_f64 v[4:5], v[30:31], v[2:3]
	v_fma_f64 v[62:63], v[28:29], v[0:1], v[4:5]
	v_mul_f64 v[0:1], v[30:31], v[0:1]
	v_fma_f64 v[60:61], v[28:29], v[2:3], -v[0:1]
	ds_read_b128 v[0:3], v160 offset:26880
	buffer_load_dword v28, off, s[24:27], 0 offset:1736 ; 4-byte Folded Reload
	buffer_load_dword v29, off, s[24:27], 0 offset:1740 ; 4-byte Folded Reload
	buffer_load_dword v30, off, s[24:27], 0 offset:1744 ; 4-byte Folded Reload
	buffer_load_dword v31, off, s[24:27], 0 offset:1748 ; 4-byte Folded Reload
	s_waitcnt vmcnt(0) lgkmcnt(0)
	v_mul_f64 v[4:5], v[30:31], v[2:3]
	v_fma_f64 v[64:65], v[28:29], v[0:1], v[4:5]
	v_mul_f64 v[0:1], v[30:31], v[0:1]
	v_fma_f64 v[66:67], v[28:29], v[2:3], -v[0:1]
	ds_read_b128 v[0:3], v160 offset:32640
	s_waitcnt lgkmcnt(0)
	v_mul_f64 v[4:5], v[198:199], v[2:3]
	v_fma_f64 v[70:71], v[196:197], v[0:1], v[4:5]
	v_mul_f64 v[0:1], v[198:199], v[0:1]
	v_fma_f64 v[68:69], v[196:197], v[2:3], -v[0:1]
	ds_read_b128 v[0:3], v160 offset:10560
	s_waitcnt lgkmcnt(0)
	;; [unrolled: 6-line block ×6, first 2 shown]
	v_mul_f64 v[4:5], v[218:219], v[2:3]
	v_fma_f64 v[50:51], v[216:217], v[0:1], v[4:5]
	v_mul_f64 v[0:1], v[218:219], v[0:1]
	v_add_f64 v[4:5], v[12:13], v[20:21]
	v_fma_f64 v[48:49], v[216:217], v[2:3], -v[0:1]
	ds_read_b128 v[0:3], v160
	s_waitcnt lgkmcnt(0)
	v_fma_f64 v[28:29], v[4:5], -0.5, v[0:1]
	v_add_f64 v[4:5], v[14:15], v[22:23]
	v_add_f64 v[0:1], v[0:1], v[12:13]
	v_add_f64 v[12:13], v[12:13], -v[20:21]
	v_fma_f64 v[30:31], v[4:5], -0.5, v[2:3]
	v_add_f64 v[4:5], v[0:1], v[20:21]
	v_add_f64 v[0:1], v[8:9], v[16:17]
	;; [unrolled: 1-line block ×3, first 2 shown]
	v_add_f64 v[14:15], v[14:15], -v[22:23]
	v_add_f64 v[92:93], v[0:1], v[24:25]
	v_add_f64 v[0:1], v[10:11], v[18:19]
	v_add_f64 v[6:7], v[2:3], v[22:23]
	v_add_f64 v[22:23], v[18:19], -v[26:27]
	v_add_f64 v[94:95], v[0:1], v[26:27]
	v_add_f64 v[0:1], v[4:5], v[92:93]
	v_add_f64 v[4:5], v[4:5], -v[92:93]
	v_add_f64 v[92:93], v[18:19], v[26:27]
	v_add_f64 v[2:3], v[6:7], v[94:95]
	v_add_f64 v[6:7], v[6:7], -v[94:95]
	v_fma_f64 v[94:95], v[12:13], s[0:1], v[30:31]
	v_fma_f64 v[92:93], v[92:93], -0.5, v[10:11]
	v_add_f64 v[10:11], v[16:17], v[24:25]
	v_add_f64 v[24:25], v[16:17], -v[24:25]
	v_fma_f64 v[20:21], v[10:11], -0.5, v[8:9]
	v_fma_f64 v[8:9], v[24:25], s[0:1], v[92:93]
	v_fma_f64 v[24:25], v[24:25], s[2:3], v[92:93]
	;; [unrolled: 1-line block ×3, first 2 shown]
	v_mul_f64 v[10:11], v[8:9], s[2:3]
	v_mul_f64 v[8:9], v[8:9], 0.5
	v_fma_f64 v[10:11], v[16:17], 0.5, v[10:11]
	v_fma_f64 v[26:27], v[16:17], s[0:1], v[8:9]
	v_fma_f64 v[8:9], v[14:15], s[2:3], v[28:29]
	;; [unrolled: 1-line block ×3, first 2 shown]
	v_add_f64 v[18:19], v[94:95], v[26:27]
	v_add_f64 v[16:17], v[8:9], v[10:11]
	v_add_f64 v[8:9], v[8:9], -v[10:11]
	v_add_f64 v[10:11], v[94:95], -v[26:27]
	v_fma_f64 v[26:27], v[12:13], s[2:3], v[30:31]
	v_fma_f64 v[12:13], v[22:23], s[0:1], v[20:21]
	v_mul_f64 v[20:21], v[24:25], s[2:3]
	v_mul_f64 v[22:23], v[24:25], -0.5
	v_fma_f64 v[24:25], v[12:13], -0.5, v[20:21]
	v_fma_f64 v[28:29], v[12:13], s[0:1], v[22:23]
	v_add_f64 v[20:21], v[14:15], v[24:25]
	v_add_f64 v[22:23], v[26:27], v[28:29]
	v_add_f64 v[12:13], v[14:15], -v[24:25]
	v_add_f64 v[14:15], v[26:27], -v[28:29]
	v_add_f64 v[28:29], v[76:77], v[84:85]
	ds_read_b128 v[24:27], v160 offset:960
	s_waitcnt lgkmcnt(0)
	v_fma_f64 v[92:93], v[28:29], -0.5, v[24:25]
	v_add_f64 v[28:29], v[78:79], v[86:87]
	v_add_f64 v[24:25], v[24:25], v[76:77]
	v_fma_f64 v[94:95], v[28:29], -0.5, v[26:27]
	v_add_f64 v[28:29], v[24:25], v[84:85]
	v_add_f64 v[24:25], v[72:73], v[80:81]
	v_add_f64 v[26:27], v[26:27], v[78:79]
	v_add_f64 v[84:85], v[76:77], -v[84:85]
	v_add_f64 v[116:117], v[24:25], v[88:89]
	v_add_f64 v[24:25], v[74:75], v[82:83]
	v_add_f64 v[30:31], v[26:27], v[86:87]
	v_add_f64 v[86:87], v[78:79], -v[86:87]
	v_add_f64 v[118:119], v[24:25], v[90:91]
	v_add_f64 v[24:25], v[28:29], v[116:117]
	v_add_f64 v[28:29], v[28:29], -v[116:117]
	v_add_f64 v[116:117], v[82:83], v[90:91]
	v_add_f64 v[82:83], v[82:83], -v[90:91]
	v_add_f64 v[26:27], v[30:31], v[118:119]
	v_add_f64 v[30:31], v[30:31], -v[118:119]
	v_fma_f64 v[118:119], v[84:85], s[0:1], v[94:95]
	v_fma_f64 v[116:117], v[116:117], -0.5, v[74:75]
	v_add_f64 v[74:75], v[80:81], v[88:89]
	v_add_f64 v[80:81], v[80:81], -v[88:89]
	v_fma_f64 v[88:89], v[74:75], -0.5, v[72:73]
	v_fma_f64 v[72:73], v[80:81], s[0:1], v[116:117]
	v_fma_f64 v[80:81], v[80:81], s[2:3], v[116:117]
	v_fma_f64 v[76:77], v[82:83], s[2:3], v[88:89]
	v_mul_f64 v[74:75], v[72:73], s[2:3]
	v_mul_f64 v[72:73], v[72:73], 0.5
	v_fma_f64 v[82:83], v[82:83], s[0:1], v[88:89]
	v_fma_f64 v[78:79], v[76:77], 0.5, v[74:75]
	v_fma_f64 v[90:91], v[76:77], s[0:1], v[72:73]
	v_fma_f64 v[76:77], v[86:87], s[2:3], v[92:93]
	v_fma_f64 v[86:87], v[86:87], s[0:1], v[92:93]
	v_add_f64 v[92:93], v[100:101], v[108:109]
	v_add_f64 v[74:75], v[118:119], v[90:91]
	v_add_f64 v[72:73], v[76:77], v[78:79]
	v_add_f64 v[76:77], v[76:77], -v[78:79]
	v_add_f64 v[78:79], v[118:119], -v[90:91]
	v_fma_f64 v[90:91], v[84:85], s[2:3], v[94:95]
	v_mul_f64 v[84:85], v[80:81], s[2:3]
	v_mul_f64 v[80:81], v[80:81], -0.5
	v_fma_f64 v[84:85], v[82:83], -0.5, v[84:85]
	v_fma_f64 v[88:89], v[82:83], s[0:1], v[80:81]
	v_add_f64 v[80:81], v[86:87], v[84:85]
	v_add_f64 v[82:83], v[90:91], v[88:89]
	v_add_f64 v[84:85], v[86:87], -v[84:85]
	v_add_f64 v[86:87], v[90:91], -v[88:89]
	ds_read_b128 v[88:91], v160 offset:1920
	s_waitcnt lgkmcnt(0)
	v_fma_f64 v[116:117], v[92:93], -0.5, v[88:89]
	v_add_f64 v[92:93], v[102:103], v[110:111]
	v_add_f64 v[88:89], v[88:89], v[100:101]
	v_fma_f64 v[118:119], v[92:93], -0.5, v[90:91]
	v_add_f64 v[92:93], v[88:89], v[108:109]
	v_add_f64 v[88:89], v[96:97], v[104:105]
	v_add_f64 v[90:91], v[90:91], v[102:103]
	v_add_f64 v[108:109], v[100:101], -v[108:109]
	v_add_f64 v[140:141], v[88:89], v[112:113]
	v_add_f64 v[88:89], v[98:99], v[106:107]
	v_add_f64 v[94:95], v[90:91], v[110:111]
	v_add_f64 v[110:111], v[102:103], -v[110:111]
	v_add_f64 v[142:143], v[88:89], v[114:115]
	v_add_f64 v[88:89], v[92:93], v[140:141]
	v_add_f64 v[92:93], v[92:93], -v[140:141]
	v_add_f64 v[140:141], v[106:107], v[114:115]
	v_add_f64 v[106:107], v[106:107], -v[114:115]
	v_add_f64 v[90:91], v[94:95], v[142:143]
	v_add_f64 v[94:95], v[94:95], -v[142:143]
	v_fma_f64 v[142:143], v[108:109], s[0:1], v[118:119]
	v_fma_f64 v[140:141], v[140:141], -0.5, v[98:99]
	v_add_f64 v[98:99], v[104:105], v[112:113]
	v_add_f64 v[104:105], v[104:105], -v[112:113]
	v_fma_f64 v[112:113], v[98:99], -0.5, v[96:97]
	v_fma_f64 v[96:97], v[104:105], s[0:1], v[140:141]
	v_fma_f64 v[104:105], v[104:105], s[2:3], v[140:141]
	v_fma_f64 v[100:101], v[106:107], s[2:3], v[112:113]
	v_mul_f64 v[98:99], v[96:97], s[2:3]
	v_mul_f64 v[96:97], v[96:97], 0.5
	v_fma_f64 v[106:107], v[106:107], s[0:1], v[112:113]
	v_fma_f64 v[102:103], v[100:101], 0.5, v[98:99]
	v_fma_f64 v[114:115], v[100:101], s[0:1], v[96:97]
	v_fma_f64 v[100:101], v[110:111], s[2:3], v[116:117]
	v_fma_f64 v[110:111], v[110:111], s[0:1], v[116:117]
	v_add_f64 v[116:117], v[124:125], v[132:133]
	v_add_f64 v[98:99], v[142:143], v[114:115]
	v_add_f64 v[96:97], v[100:101], v[102:103]
	v_add_f64 v[100:101], v[100:101], -v[102:103]
	v_add_f64 v[102:103], v[142:143], -v[114:115]
	v_fma_f64 v[114:115], v[108:109], s[2:3], v[118:119]
	v_mul_f64 v[108:109], v[104:105], s[2:3]
	v_mul_f64 v[104:105], v[104:105], -0.5
	v_fma_f64 v[108:109], v[106:107], -0.5, v[108:109]
	v_fma_f64 v[112:113], v[106:107], s[0:1], v[104:105]
	v_add_f64 v[104:105], v[110:111], v[108:109]
	v_add_f64 v[106:107], v[114:115], v[112:113]
	v_add_f64 v[108:109], v[110:111], -v[108:109]
	v_add_f64 v[110:111], v[114:115], -v[112:113]
	;; [unrolled: 50-line block ×4, first 2 shown]
	ds_read_b128 v[68:71], v160 offset:4800
	ds_write_b128 v160, v[0:3]
	ds_write_b128 v160, v[16:19] offset:5760
	ds_write_b128 v160, v[20:23] offset:11520
	;; [unrolled: 1-line block ×6, first 2 shown]
	buffer_load_dword v6, off, s[24:27], 0 offset:72 ; 4-byte Folded Reload
	buffer_load_dword v7, off, s[24:27], 0 offset:76 ; 4-byte Folded Reload
	v_mov_b32_e32 v24, s7
	s_waitcnt lgkmcnt(7)
	v_fma_f64 v[148:149], v[144:145], -0.5, v[68:69]
	v_add_f64 v[144:145], v[38:39], v[46:47]
	v_add_f64 v[68:69], v[68:69], v[34:35]
	v_fma_f64 v[150:151], v[144:145], -0.5, v[70:71]
	v_add_f64 v[144:145], v[68:69], v[44:45]
	v_add_f64 v[68:69], v[32:33], v[42:43]
	;; [unrolled: 1-line block ×3, first 2 shown]
	v_add_f64 v[44:45], v[34:35], -v[44:45]
	v_add_f64 v[152:153], v[68:69], v[50:51]
	v_add_f64 v[68:69], v[36:37], v[40:41]
	;; [unrolled: 1-line block ×3, first 2 shown]
	v_add_f64 v[46:47], v[38:39], -v[46:47]
	v_add_f64 v[154:155], v[68:69], v[48:49]
	v_add_f64 v[68:69], v[144:145], v[152:153]
	v_add_f64 v[144:145], v[144:145], -v[152:153]
	v_add_f64 v[152:153], v[40:41], v[48:49]
	v_add_f64 v[40:41], v[40:41], -v[48:49]
	;; [unrolled: 2-line block ×3, first 2 shown]
	v_fma_f64 v[154:155], v[44:45], s[0:1], v[150:151]
	v_fma_f64 v[152:153], v[152:153], -0.5, v[36:37]
	v_add_f64 v[36:37], v[42:43], v[50:51]
	v_add_f64 v[42:43], v[42:43], -v[50:51]
	v_fma_f64 v[50:51], v[36:37], -0.5, v[32:33]
	v_fma_f64 v[32:33], v[42:43], s[0:1], v[152:153]
	v_fma_f64 v[42:43], v[42:43], s[2:3], v[152:153]
	;; [unrolled: 1-line block ×3, first 2 shown]
	v_mul_f64 v[34:35], v[32:33], s[2:3]
	v_mul_f64 v[32:33], v[32:33], 0.5
	v_fma_f64 v[40:41], v[40:41], s[0:1], v[50:51]
	v_fma_f64 v[38:39], v[36:37], 0.5, v[34:35]
	v_fma_f64 v[48:49], v[36:37], s[0:1], v[32:33]
	v_fma_f64 v[36:37], v[46:47], s[2:3], v[148:149]
	;; [unrolled: 1-line block ×3, first 2 shown]
	v_add_f64 v[34:35], v[154:155], v[48:49]
	v_add_f64 v[32:33], v[36:37], v[38:39]
	v_add_f64 v[36:37], v[36:37], -v[38:39]
	v_add_f64 v[38:39], v[154:155], -v[48:49]
	v_fma_f64 v[48:49], v[44:45], s[2:3], v[150:151]
	v_mul_f64 v[44:45], v[42:43], s[2:3]
	v_mul_f64 v[42:43], v[42:43], -0.5
	s_mov_b32 s2, 0xc901e574
	s_mov_b32 s3, 0x3f3e573a
	v_fma_f64 v[44:45], v[40:41], -0.5, v[44:45]
	v_fma_f64 v[50:51], v[40:41], s[0:1], v[42:43]
	v_mad_u64_u32 v[18:19], s[0:1], s8, v168, 0
	s_waitcnt vmcnt(1)
	v_mad_u64_u32 v[4:5], s[0:1], s10, v6, 0
	s_mul_i32 s10, s9, 0x1b00
	v_add_f64 v[40:41], v[46:47], v[44:45]
	v_add_f64 v[42:43], v[48:49], v[50:51]
	v_add_f64 v[44:45], v[46:47], -v[44:45]
	v_add_f64 v[46:47], v[48:49], -v[50:51]
	ds_write_b128 v160, v[72:75] offset:6720
	ds_write_b128 v160, v[80:83] offset:12480
	;; [unrolled: 1-line block ×29, first 2 shown]
	s_waitcnt lgkmcnt(0)
	; wave barrier
	s_waitcnt lgkmcnt(0)
	ds_read_b128 v[0:3], v160
	buffer_load_dword v14, off, s[24:27], 0 offset:80 ; 4-byte Folded Reload
	buffer_load_dword v15, off, s[24:27], 0 offset:84 ; 4-byte Folded Reload
	;; [unrolled: 1-line block ×4, first 2 shown]
	v_mad_u64_u32 v[5:6], s[0:1], s11, v6, v[5:6]
	s_waitcnt vmcnt(4)
	ds_read_b128 v[6:9], v160 offset:33024
	v_mov_b32_e32 v70, 0x1b00
	v_lshlrev_b64 v[4:5], 4, v[4:5]
	s_waitcnt vmcnt(0) lgkmcnt(1)
	v_mul_f64 v[10:11], v[16:17], v[2:3]
	v_mul_f64 v[12:13], v[16:17], v[0:1]
	v_fma_f64 v[0:1], v[14:15], v[0:1], v[10:11]
	v_mov_b32_e32 v10, v19
	v_fma_f64 v[2:3], v[14:15], v[2:3], -v[12:13]
	v_mad_u64_u32 v[14:15], s[0:1], s9, v168, v[10:11]
	ds_read_b128 v[10:13], v160 offset:3456
	v_add_co_u32_e64 v67, s[0:1], s6, v4
	v_mov_b32_e32 v19, v14
	ds_read_b128 v[14:17], v160 offset:4416
	buffer_load_dword v25, off, s[24:27], 0 offset:96 ; 4-byte Folded Reload
	buffer_load_dword v26, off, s[24:27], 0 offset:100 ; 4-byte Folded Reload
	buffer_load_dword v27, off, s[24:27], 0 offset:104 ; 4-byte Folded Reload
	buffer_load_dword v28, off, s[24:27], 0 offset:108 ; 4-byte Folded Reload
	v_mul_f64 v[0:1], v[0:1], s[2:3]
	v_mul_f64 v[2:3], v[2:3], s[2:3]
	v_addc_co_u32_e64 v68, s[0:1], v24, v5, s[0:1]
	v_lshlrev_b64 v[4:5], 4, v[18:19]
	v_add_co_u32_e64 v4, s[0:1], v67, v4
	v_addc_co_u32_e64 v5, s[0:1], v68, v5, s[0:1]
	global_store_dwordx4 v[4:5], v[0:3], off
	ds_read_b128 v[0:3], v160 offset:6912
	s_mul_i32 s0, s9, 0xd8
	s_mul_hi_u32 s1, s8, 0xd8
	s_add_i32 s1, s1, s0
	s_mul_i32 s0, s8, 0xd8
	s_lshl_b64 s[4:5], s[0:1], 4
	v_mov_b32_e32 v69, s5
	v_add_co_u32_e64 v4, s[0:1], s4, v4
	v_addc_co_u32_e64 v5, s[0:1], v5, v69, s[0:1]
	s_waitcnt vmcnt(1) lgkmcnt(2)
	v_mul_f64 v[20:21], v[27:28], v[12:13]
	v_mul_f64 v[22:23], v[27:28], v[10:11]
	v_fma_f64 v[10:11], v[25:26], v[10:11], v[20:21]
	ds_read_b128 v[18:21], v160 offset:5376
	buffer_load_dword v30, off, s[24:27], 0 offset:112 ; 4-byte Folded Reload
	buffer_load_dword v31, off, s[24:27], 0 offset:116 ; 4-byte Folded Reload
	;; [unrolled: 1-line block ×4, first 2 shown]
	v_fma_f64 v[12:13], v[25:26], v[12:13], -v[22:23]
	ds_read_b128 v[22:25], v160 offset:10368
	v_mul_f64 v[10:11], v[10:11], s[2:3]
	v_mul_f64 v[12:13], v[12:13], s[2:3]
	s_waitcnt vmcnt(0) lgkmcnt(2)
	v_mul_f64 v[26:27], v[32:33], v[2:3]
	v_mul_f64 v[28:29], v[32:33], v[0:1]
	v_fma_f64 v[26:27], v[30:31], v[0:1], v[26:27]
	v_fma_f64 v[30:31], v[30:31], v[2:3], -v[28:29]
	ds_read_b128 v[0:3], v160 offset:11328
	buffer_load_dword v36, off, s[24:27], 0 offset:128 ; 4-byte Folded Reload
	buffer_load_dword v37, off, s[24:27], 0 offset:132 ; 4-byte Folded Reload
	;; [unrolled: 1-line block ×4, first 2 shown]
	s_waitcnt vmcnt(0) lgkmcnt(1)
	v_mul_f64 v[32:33], v[38:39], v[24:25]
	v_mul_f64 v[34:35], v[38:39], v[22:23]
	global_store_dwordx4 v[4:5], v[10:13], off
	v_add_co_u32_e64 v4, s[0:1], s4, v4
	v_mul_f64 v[10:11], v[26:27], s[2:3]
	ds_read_b128 v[26:29], v160 offset:13824
	v_mul_f64 v[12:13], v[30:31], s[2:3]
	v_fma_f64 v[30:31], v[36:37], v[22:23], v[32:33]
	v_fma_f64 v[34:35], v[36:37], v[24:25], -v[34:35]
	ds_read_b128 v[22:25], v160 offset:12288
	buffer_load_dword v40, off, s[24:27], 0 offset:144 ; 4-byte Folded Reload
	buffer_load_dword v41, off, s[24:27], 0 offset:148 ; 4-byte Folded Reload
	;; [unrolled: 1-line block ×4, first 2 shown]
	v_addc_co_u32_e64 v5, s[0:1], v5, v69, s[0:1]
	global_store_dwordx4 v[4:5], v[10:13], off
	s_nop 0
	v_mul_f64 v[10:11], v[30:31], s[2:3]
	ds_read_b128 v[30:33], v160 offset:17280
	v_mul_f64 v[12:13], v[34:35], s[2:3]
	v_add_co_u32_e64 v4, s[0:1], s4, v4
	v_addc_co_u32_e64 v5, s[0:1], v5, v69, s[0:1]
	s_waitcnt vmcnt(1) lgkmcnt(2)
	v_mul_f64 v[36:37], v[42:43], v[28:29]
	v_mul_f64 v[38:39], v[42:43], v[26:27]
	v_fma_f64 v[34:35], v[40:41], v[26:27], v[36:37]
	v_fma_f64 v[38:39], v[40:41], v[28:29], -v[38:39]
	ds_read_b128 v[26:29], v160 offset:18240
	buffer_load_dword v44, off, s[24:27], 0 offset:160 ; 4-byte Folded Reload
	buffer_load_dword v45, off, s[24:27], 0 offset:164 ; 4-byte Folded Reload
	buffer_load_dword v46, off, s[24:27], 0 offset:168 ; 4-byte Folded Reload
	buffer_load_dword v47, off, s[24:27], 0 offset:172 ; 4-byte Folded Reload
	s_waitcnt vmcnt(0) lgkmcnt(1)
	v_mul_f64 v[40:41], v[46:47], v[32:33]
	v_mul_f64 v[42:43], v[46:47], v[30:31]
	global_store_dwordx4 v[4:5], v[10:13], off
	v_add_co_u32_e64 v4, s[0:1], s4, v4
	v_mul_f64 v[10:11], v[34:35], s[2:3]
	ds_read_b128 v[34:37], v160 offset:20736
	v_mul_f64 v[12:13], v[38:39], s[2:3]
	v_fma_f64 v[38:39], v[44:45], v[30:31], v[40:41]
	v_fma_f64 v[42:43], v[44:45], v[32:33], -v[42:43]
	ds_read_b128 v[30:33], v160 offset:19200
	buffer_load_dword v48, off, s[24:27], 0 offset:196 ; 4-byte Folded Reload
	buffer_load_dword v49, off, s[24:27], 0 offset:200 ; 4-byte Folded Reload
	;; [unrolled: 1-line block ×4, first 2 shown]
	v_addc_co_u32_e64 v5, s[0:1], v5, v69, s[0:1]
	global_store_dwordx4 v[4:5], v[10:13], off
	s_nop 0
	v_mul_f64 v[10:11], v[38:39], s[2:3]
	ds_read_b128 v[38:41], v160 offset:24192
	v_mul_f64 v[12:13], v[42:43], s[2:3]
	v_add_co_u32_e64 v4, s[0:1], s4, v4
	v_addc_co_u32_e64 v5, s[0:1], v5, v69, s[0:1]
	s_waitcnt vmcnt(1) lgkmcnt(2)
	v_mul_f64 v[44:45], v[50:51], v[36:37]
	v_mul_f64 v[46:47], v[50:51], v[34:35]
	v_fma_f64 v[42:43], v[48:49], v[34:35], v[44:45]
	v_fma_f64 v[44:45], v[48:49], v[36:37], -v[46:47]
	ds_read_b128 v[34:37], v160 offset:25152
	buffer_load_dword v50, off, s[24:27], 0 offset:180 ; 4-byte Folded Reload
	buffer_load_dword v51, off, s[24:27], 0 offset:184 ; 4-byte Folded Reload
	;; [unrolled: 1-line block ×4, first 2 shown]
	s_waitcnt vmcnt(0) lgkmcnt(1)
	v_mul_f64 v[46:47], v[52:53], v[40:41]
	global_store_dwordx4 v[4:5], v[10:13], off
	v_mul_f64 v[48:49], v[52:53], v[38:39]
	v_mul_f64 v[10:11], v[42:43], s[2:3]
	;; [unrolled: 1-line block ×3, first 2 shown]
	v_add_co_u32_e64 v4, s[0:1], s4, v4
	v_addc_co_u32_e64 v5, s[0:1], v5, v69, s[0:1]
	v_fma_f64 v[42:43], v[50:51], v[38:39], v[46:47]
	v_fma_f64 v[46:47], v[50:51], v[40:41], -v[48:49]
	ds_read_b128 v[38:41], v160 offset:27648
	global_store_dwordx4 v[4:5], v[10:13], off
	v_add_co_u32_e64 v4, s[0:1], s4, v4
	v_addc_co_u32_e64 v5, s[0:1], v5, v69, s[0:1]
	v_mul_f64 v[10:11], v[42:43], s[2:3]
	ds_read_b128 v[42:45], v160 offset:26112
	buffer_load_dword v59, off, s[24:27], 0 offset:212 ; 4-byte Folded Reload
	buffer_load_dword v60, off, s[24:27], 0 offset:216 ; 4-byte Folded Reload
	;; [unrolled: 1-line block ×4, first 2 shown]
	v_mul_f64 v[12:13], v[46:47], s[2:3]
	ds_read_b128 v[46:49], v160 offset:31104
	global_store_dwordx4 v[4:5], v[10:13], off
	ds_read_b128 v[10:13], v160 offset:32064
	v_mad_u64_u32 v[4:5], s[0:1], s8, v70, v[4:5]
	v_add_u32_e32 v5, s10, v5
	s_waitcnt vmcnt(1) lgkmcnt(3)
	v_mul_f64 v[50:51], v[61:62], v[40:41]
	v_mul_f64 v[52:53], v[61:62], v[38:39]
	buffer_load_dword v61, off, s[24:27], 0 offset:228 ; 4-byte Folded Reload
	buffer_load_dword v62, off, s[24:27], 0 offset:232 ; 4-byte Folded Reload
	;; [unrolled: 1-line block ×5, first 2 shown]
	v_fma_f64 v[38:39], v[59:60], v[38:39], v[50:51]
	v_fma_f64 v[40:41], v[59:60], v[40:41], -v[52:53]
	v_mul_f64 v[38:39], v[38:39], s[2:3]
	v_mul_f64 v[40:41], v[40:41], s[2:3]
	s_waitcnt vmcnt(1) lgkmcnt(1)
	v_mul_f64 v[50:51], v[63:64], v[48:49]
	v_mul_f64 v[56:57], v[63:64], v[46:47]
	s_waitcnt vmcnt(0)
	v_mad_u64_u32 v[54:55], s[0:1], s8, v58, 0
	v_mov_b32_e32 v52, v55
	v_mad_u64_u32 v[58:59], s[0:1], s9, v58, v[52:53]
	v_fma_f64 v[59:60], v[61:62], v[46:47], v[50:51]
	ds_read_b128 v[50:53], v160 offset:960
	v_fma_f64 v[56:57], v[61:62], v[48:49], -v[56:57]
	ds_read_b128 v[46:49], v160 offset:1920
	buffer_load_dword v71, off, s[24:27], 0 offset:244 ; 4-byte Folded Reload
	buffer_load_dword v72, off, s[24:27], 0 offset:248 ; 4-byte Folded Reload
	;; [unrolled: 1-line block ×4, first 2 shown]
	v_mov_b32_e32 v55, v58
	v_lshlrev_b64 v[65:66], 4, v[54:55]
	v_mul_f64 v[54:55], v[59:60], s[2:3]
	v_add_co_u32_e64 v58, s[0:1], v67, v65
	v_mul_f64 v[56:57], v[56:57], s[2:3]
	v_addc_co_u32_e64 v59, s[0:1], v68, v66, s[0:1]
	global_store_dwordx4 v[58:59], v[38:41], off
	s_mul_hi_u32 s1, s8, 0xfffff8a4
	s_mul_i32 s0, s9, 0xfffff8a4
	s_sub_i32 s1, s1, s8
	s_add_i32 s1, s1, s0
	global_store_dwordx4 v[4:5], v[54:57], off
	s_mul_i32 s0, s8, 0xfffff8a4
	s_lshl_b64 s[6:7], s[0:1], 4
	v_add_co_u32_e64 v4, s[0:1], s6, v4
	s_waitcnt vmcnt(2) lgkmcnt(1)
	v_mul_f64 v[61:62], v[73:74], v[52:53]
	v_mul_f64 v[63:64], v[73:74], v[50:51]
	v_fma_f64 v[50:51], v[71:72], v[50:51], v[61:62]
	buffer_load_dword v58, off, s[24:27], 0 offset:260 ; 4-byte Folded Reload
	buffer_load_dword v59, off, s[24:27], 0 offset:264 ; 4-byte Folded Reload
	;; [unrolled: 1-line block ×4, first 2 shown]
	v_fma_f64 v[52:53], v[71:72], v[52:53], -v[63:64]
	v_mov_b32_e32 v62, s7
	v_addc_co_u32_e64 v5, s[0:1], v5, v62, s[0:1]
	v_mul_f64 v[38:39], v[50:51], s[2:3]
	v_mul_f64 v[40:41], v[52:53], s[2:3]
	ds_read_b128 v[50:53], v160 offset:7872
	s_waitcnt vmcnt(0)
	v_mul_f64 v[54:55], v[60:61], v[16:17]
	v_mul_f64 v[56:57], v[60:61], v[14:15]
	v_fma_f64 v[54:55], v[58:59], v[14:15], v[54:55]
	v_fma_f64 v[56:57], v[58:59], v[16:17], -v[56:57]
	ds_read_b128 v[14:17], v160 offset:8832
	buffer_load_dword v63, off, s[24:27], 0 offset:276 ; 4-byte Folded Reload
	buffer_load_dword v64, off, s[24:27], 0 offset:280 ; 4-byte Folded Reload
	;; [unrolled: 1-line block ×4, first 2 shown]
	s_waitcnt vmcnt(0) lgkmcnt(1)
	v_mul_f64 v[58:59], v[65:66], v[52:53]
	v_mul_f64 v[60:61], v[65:66], v[50:51]
	global_store_dwordx4 v[4:5], v[38:41], off
	v_add_co_u32_e64 v4, s[0:1], s4, v4
	v_mul_f64 v[38:39], v[54:55], s[2:3]
	v_mul_f64 v[40:41], v[56:57], s[2:3]
	v_addc_co_u32_e64 v5, s[0:1], v5, v69, s[0:1]
	v_fma_f64 v[50:51], v[63:64], v[50:51], v[58:59]
	v_fma_f64 v[54:55], v[63:64], v[52:53], -v[60:61]
	buffer_load_dword v63, off, s[24:27], 0 offset:292 ; 4-byte Folded Reload
	buffer_load_dword v64, off, s[24:27], 0 offset:296 ; 4-byte Folded Reload
	buffer_load_dword v65, off, s[24:27], 0 offset:300 ; 4-byte Folded Reload
	buffer_load_dword v66, off, s[24:27], 0 offset:304 ; 4-byte Folded Reload
	s_waitcnt vmcnt(0)
	v_mul_f64 v[56:57], v[65:66], v[2:3]
	v_mul_f64 v[58:59], v[65:66], v[0:1]
	global_store_dwordx4 v[4:5], v[38:41], off
	v_add_co_u32_e64 v4, s[0:1], s4, v4
	v_mul_f64 v[38:39], v[50:51], s[2:3]
	ds_read_b128 v[50:53], v160 offset:14784
	v_mul_f64 v[40:41], v[54:55], s[2:3]
	v_fma_f64 v[54:55], v[63:64], v[0:1], v[56:57]
	v_fma_f64 v[56:57], v[63:64], v[2:3], -v[58:59]
	ds_read_b128 v[0:3], v160 offset:15744
	buffer_load_dword v63, off, s[24:27], 0 offset:372 ; 4-byte Folded Reload
	buffer_load_dword v64, off, s[24:27], 0 offset:376 ; 4-byte Folded Reload
	buffer_load_dword v65, off, s[24:27], 0 offset:380 ; 4-byte Folded Reload
	buffer_load_dword v66, off, s[24:27], 0 offset:384 ; 4-byte Folded Reload
	v_addc_co_u32_e64 v5, s[0:1], v5, v69, s[0:1]
	global_store_dwordx4 v[4:5], v[38:41], off
	s_nop 0
	v_mul_f64 v[38:39], v[54:55], s[2:3]
	v_mul_f64 v[40:41], v[56:57], s[2:3]
	v_add_co_u32_e64 v4, s[0:1], s4, v4
	v_addc_co_u32_e64 v5, s[0:1], v5, v69, s[0:1]
	s_waitcnt vmcnt(1) lgkmcnt(1)
	v_mul_f64 v[58:59], v[65:66], v[52:53]
	v_mul_f64 v[60:61], v[65:66], v[50:51]
	v_fma_f64 v[50:51], v[63:64], v[50:51], v[58:59]
	v_fma_f64 v[54:55], v[63:64], v[52:53], -v[60:61]
	buffer_load_dword v63, off, s[24:27], 0 offset:356 ; 4-byte Folded Reload
	buffer_load_dword v64, off, s[24:27], 0 offset:360 ; 4-byte Folded Reload
	buffer_load_dword v65, off, s[24:27], 0 offset:364 ; 4-byte Folded Reload
	buffer_load_dword v66, off, s[24:27], 0 offset:368 ; 4-byte Folded Reload
	s_waitcnt vmcnt(0)
	v_mul_f64 v[56:57], v[65:66], v[28:29]
	v_mul_f64 v[58:59], v[65:66], v[26:27]
	global_store_dwordx4 v[4:5], v[38:41], off
	v_add_co_u32_e64 v4, s[0:1], s4, v4
	v_mul_f64 v[38:39], v[50:51], s[2:3]
	ds_read_b128 v[50:53], v160 offset:21696
	v_mul_f64 v[40:41], v[54:55], s[2:3]
	v_fma_f64 v[54:55], v[63:64], v[26:27], v[56:57]
	v_fma_f64 v[56:57], v[63:64], v[28:29], -v[58:59]
	ds_read_b128 v[26:29], v160 offset:22656
	buffer_load_dword v63, off, s[24:27], 0 offset:340 ; 4-byte Folded Reload
	buffer_load_dword v64, off, s[24:27], 0 offset:344 ; 4-byte Folded Reload
	buffer_load_dword v65, off, s[24:27], 0 offset:348 ; 4-byte Folded Reload
	buffer_load_dword v66, off, s[24:27], 0 offset:352 ; 4-byte Folded Reload
	v_addc_co_u32_e64 v5, s[0:1], v5, v69, s[0:1]
	global_store_dwordx4 v[4:5], v[38:41], off
	s_nop 0
	v_mul_f64 v[38:39], v[54:55], s[2:3]
	v_mul_f64 v[40:41], v[56:57], s[2:3]
	v_add_co_u32_e64 v4, s[0:1], s4, v4
	v_addc_co_u32_e64 v5, s[0:1], v5, v69, s[0:1]
	s_waitcnt vmcnt(1) lgkmcnt(1)
	v_mul_f64 v[58:59], v[65:66], v[52:53]
	v_mul_f64 v[60:61], v[65:66], v[50:51]
	;; [unrolled: 31-line block ×3, first 2 shown]
	v_fma_f64 v[50:51], v[63:64], v[50:51], v[58:59]
	v_fma_f64 v[52:53], v[63:64], v[52:53], -v[60:61]
	buffer_load_dword v58, off, s[24:27], 0 offset:456 ; 4-byte Folded Reload
	buffer_load_dword v59, off, s[24:27], 0 offset:460 ; 4-byte Folded Reload
	;; [unrolled: 1-line block ×4, first 2 shown]
	s_waitcnt vmcnt(0)
	v_mul_f64 v[54:55], v[60:61], v[12:13]
	v_mul_f64 v[56:57], v[60:61], v[10:11]
	global_store_dwordx4 v[4:5], v[38:41], off
	v_add_co_u32_e64 v4, s[0:1], s4, v4
	v_mul_f64 v[38:39], v[50:51], s[2:3]
	v_mul_f64 v[40:41], v[52:53], s[2:3]
	v_addc_co_u32_e64 v5, s[0:1], v5, v69, s[0:1]
	v_fma_f64 v[10:11], v[58:59], v[10:11], v[54:55]
	v_fma_f64 v[12:13], v[58:59], v[12:13], -v[56:57]
	buffer_load_dword v54, off, s[24:27], 0 offset:324 ; 4-byte Folded Reload
	buffer_load_dword v55, off, s[24:27], 0 offset:328 ; 4-byte Folded Reload
	;; [unrolled: 1-line block ×4, first 2 shown]
	v_mul_f64 v[10:11], v[10:11], s[2:3]
	global_store_dwordx4 v[4:5], v[38:41], off
	v_mul_f64 v[12:13], v[12:13], s[2:3]
	v_add_co_u32_e64 v4, s[0:1], s4, v4
	v_addc_co_u32_e64 v5, s[0:1], v5, v69, s[0:1]
	s_waitcnt vmcnt(1)
	v_mul_f64 v[50:51], v[56:57], v[48:49]
	v_mul_f64 v[52:53], v[56:57], v[46:47]
	v_fma_f64 v[38:39], v[54:55], v[46:47], v[50:51]
	v_fma_f64 v[40:41], v[54:55], v[48:49], -v[52:53]
	buffer_load_dword v50, off, s[24:27], 0 offset:420 ; 4-byte Folded Reload
	buffer_load_dword v51, off, s[24:27], 0 offset:424 ; 4-byte Folded Reload
	;; [unrolled: 1-line block ×4, first 2 shown]
	s_waitcnt vmcnt(0)
	v_mul_f64 v[46:47], v[52:53], v[20:21]
	v_mul_f64 v[48:49], v[52:53], v[18:19]
	global_store_dwordx4 v[4:5], v[10:13], off
	v_add_co_u32_e64 v4, s[0:1], s6, v4
	v_mul_f64 v[10:11], v[38:39], s[2:3]
	v_mul_f64 v[12:13], v[40:41], s[2:3]
	v_addc_co_u32_e64 v5, s[0:1], v5, v62, s[0:1]
	v_fma_f64 v[18:19], v[50:51], v[18:19], v[46:47]
	v_fma_f64 v[20:21], v[50:51], v[20:21], -v[48:49]
	buffer_load_dword v46, off, s[24:27], 0 offset:308 ; 4-byte Folded Reload
	buffer_load_dword v47, off, s[24:27], 0 offset:312 ; 4-byte Folded Reload
	;; [unrolled: 1-line block ×4, first 2 shown]
	s_waitcnt vmcnt(0)
	v_mul_f64 v[38:39], v[48:49], v[16:17]
	global_store_dwordx4 v[4:5], v[10:13], off
	buffer_load_dword v50, off, s[24:27], 0 offset:504 ; 4-byte Folded Reload
	buffer_load_dword v51, off, s[24:27], 0 offset:508 ; 4-byte Folded Reload
	;; [unrolled: 1-line block ×4, first 2 shown]
	v_mul_f64 v[10:11], v[18:19], s[2:3]
	v_mul_f64 v[12:13], v[20:21], s[2:3]
	;; [unrolled: 1-line block ×3, first 2 shown]
	v_add_co_u32_e64 v4, s[0:1], s4, v4
	v_addc_co_u32_e64 v5, s[0:1], v5, v69, s[0:1]
	v_fma_f64 v[14:15], v[46:47], v[14:15], v[38:39]
	global_store_dwordx4 v[4:5], v[10:13], off
	v_fma_f64 v[16:17], v[46:47], v[16:17], -v[40:41]
	buffer_load_dword v46, off, s[24:27], 0 offset:488 ; 4-byte Folded Reload
	buffer_load_dword v47, off, s[24:27], 0 offset:492 ; 4-byte Folded Reload
	;; [unrolled: 1-line block ×5, first 2 shown]
	v_add_co_u32_e64 v4, s[0:1], s4, v4
	v_mul_f64 v[10:11], v[14:15], s[2:3]
	v_addc_co_u32_e64 v5, s[0:1], v5, v69, s[0:1]
	v_mul_f64 v[12:13], v[16:17], s[2:3]
	global_store_dwordx4 v[4:5], v[10:13], off
	v_mad_u64_u32 v[4:5], s[0:1], s8, v70, v[4:5]
	v_add_u32_e32 v5, s10, v5
	s_waitcnt vmcnt(7)
	v_mul_f64 v[18:19], v[52:53], v[24:25]
	v_mul_f64 v[16:17], v[52:53], v[22:23]
	v_fma_f64 v[14:15], v[50:51], v[22:23], v[18:19]
	v_fma_f64 v[16:17], v[50:51], v[24:25], -v[16:17]
	s_waitcnt vmcnt(2)
	v_mul_f64 v[18:19], v[48:49], v[2:3]
	s_waitcnt vmcnt(1)
	v_mad_u64_u32 v[22:23], s[0:1], s8, v38, 0
	v_mul_f64 v[20:21], v[48:49], v[0:1]
	v_mul_f64 v[10:11], v[14:15], s[2:3]
	v_mov_b32_e32 v12, v23
	v_mad_u64_u32 v[14:15], s[0:1], s9, v38, v[12:13]
	buffer_load_dword v38, off, s[24:27], 0 offset:472 ; 4-byte Folded Reload
	buffer_load_dword v39, off, s[24:27], 0 offset:476 ; 4-byte Folded Reload
	;; [unrolled: 1-line block ×4, first 2 shown]
	v_fma_f64 v[0:1], v[46:47], v[0:1], v[18:19]
	v_mul_f64 v[12:13], v[16:17], s[2:3]
	v_mov_b32_e32 v23, v14
	v_fma_f64 v[2:3], v[46:47], v[2:3], -v[20:21]
	v_lshlrev_b64 v[19:20], 4, v[22:23]
	v_mul_f64 v[0:1], v[0:1], s[2:3]
	v_mul_f64 v[2:3], v[2:3], s[2:3]
	s_waitcnt vmcnt(0)
	v_mul_f64 v[15:16], v[40:41], v[32:33]
	v_mul_f64 v[17:18], v[40:41], v[30:31]
	v_fma_f64 v[14:15], v[38:39], v[30:31], v[15:16]
	v_fma_f64 v[16:17], v[38:39], v[32:33], -v[17:18]
	buffer_load_dword v30, off, s[24:27], 0 offset:388 ; 4-byte Folded Reload
	buffer_load_dword v31, off, s[24:27], 0 offset:392 ; 4-byte Folded Reload
	;; [unrolled: 1-line block ×4, first 2 shown]
	v_add_co_u32_e64 v18, s[0:1], v67, v19
	v_addc_co_u32_e64 v19, s[0:1], v68, v20, s[0:1]
	global_store_dwordx4 v[18:19], v[10:13], off
	global_store_dwordx4 v[4:5], v[0:3], off
	v_add_co_u32_e64 v4, s[0:1], s4, v4
	v_mul_f64 v[0:1], v[14:15], s[2:3]
	v_mul_f64 v[2:3], v[16:17], s[2:3]
	v_addc_co_u32_e64 v5, s[0:1], v5, v69, s[0:1]
	s_waitcnt vmcnt(2)
	v_mul_f64 v[21:22], v[32:33], v[28:29]
	v_mul_f64 v[23:24], v[32:33], v[26:27]
	v_fma_f64 v[10:11], v[30:31], v[26:27], v[21:22]
	buffer_load_dword v18, off, s[24:27], 0 offset:440 ; 4-byte Folded Reload
	buffer_load_dword v19, off, s[24:27], 0 offset:444 ; 4-byte Folded Reload
	;; [unrolled: 1-line block ×4, first 2 shown]
	v_fma_f64 v[12:13], v[30:31], v[28:29], -v[23:24]
	global_store_dwordx4 v[4:5], v[0:3], off
	buffer_load_dword v22, off, s[24:27], 0 offset:404 ; 4-byte Folded Reload
	buffer_load_dword v23, off, s[24:27], 0 offset:408 ; 4-byte Folded Reload
	;; [unrolled: 1-line block ×4, first 2 shown]
	v_add_co_u32_e64 v4, s[0:1], s4, v4
	v_addc_co_u32_e64 v5, s[0:1], v5, v69, s[0:1]
	v_mul_f64 v[0:1], v[10:11], s[2:3]
	v_mul_f64 v[2:3], v[12:13], s[2:3]
	s_waitcnt vmcnt(5)
	v_mul_f64 v[14:15], v[20:21], v[44:45]
	v_mul_f64 v[16:17], v[20:21], v[42:43]
	v_fma_f64 v[10:11], v[18:19], v[42:43], v[14:15]
	v_fma_f64 v[12:13], v[18:19], v[44:45], -v[16:17]
	s_waitcnt vmcnt(0) lgkmcnt(0)
	v_mul_f64 v[14:15], v[24:25], v[36:37]
	v_mul_f64 v[16:17], v[24:25], v[34:35]
	buffer_load_dword v24, off, s[24:27], 0 offset:520 ; 4-byte Folded Reload
	buffer_load_dword v25, off, s[24:27], 0 offset:524 ; 4-byte Folded Reload
	buffer_load_dword v26, off, s[24:27], 0 offset:528 ; 4-byte Folded Reload
	buffer_load_dword v27, off, s[24:27], 0 offset:532 ; 4-byte Folded Reload
	s_waitcnt vmcnt(0)
	v_mul_f64 v[18:19], v[26:27], v[8:9]
	v_mul_f64 v[20:21], v[26:27], v[6:7]
	global_store_dwordx4 v[4:5], v[0:3], off
	s_nop 0
	v_mul_f64 v[0:1], v[10:11], s[2:3]
	v_mul_f64 v[2:3], v[12:13], s[2:3]
	v_fma_f64 v[10:11], v[22:23], v[34:35], v[14:15]
	v_fma_f64 v[12:13], v[22:23], v[36:37], -v[16:17]
	v_fma_f64 v[14:15], v[24:25], v[6:7], v[18:19]
	v_fma_f64 v[16:17], v[24:25], v[8:9], -v[20:21]
	v_add_co_u32_e64 v18, s[0:1], s4, v4
	v_addc_co_u32_e64 v19, s[0:1], v5, v69, s[0:1]
	v_mul_f64 v[4:5], v[10:11], s[2:3]
	v_mul_f64 v[6:7], v[12:13], s[2:3]
	;; [unrolled: 1-line block ×4, first 2 shown]
	global_store_dwordx4 v[18:19], v[0:3], off
	s_nop 0
	v_add_co_u32_e64 v0, s[0:1], s4, v18
	v_addc_co_u32_e64 v1, s[0:1], v19, v69, s[0:1]
	global_store_dwordx4 v[0:1], v[4:7], off
	v_add_co_u32_e64 v0, s[0:1], s4, v0
	v_addc_co_u32_e64 v1, s[0:1], v1, v69, s[0:1]
	global_store_dwordx4 v[0:1], v[8:11], off
	s_and_b64 exec, exec, vcc
	s_cbranch_execz .LBB0_15
; %bb.14:
	buffer_load_dword v21, off, s[24:27], 0 offset:64 ; 4-byte Folded Reload
	buffer_load_dword v22, off, s[24:27], 0 offset:68 ; 4-byte Folded Reload
	s_movk_i32 s0, 0x1000
	v_mov_b32_e32 v20, s5
	s_waitcnt vmcnt(0)
	global_load_dwordx4 v[2:5], v[21:22], off offset:2880
	ds_read_b128 v[6:9], v160 offset:2880
	ds_read_b128 v[10:13], v160 offset:33984
	s_waitcnt vmcnt(0) lgkmcnt(1)
	v_mul_f64 v[14:15], v[8:9], v[4:5]
	v_mul_f64 v[4:5], v[6:7], v[4:5]
	v_fma_f64 v[6:7], v[6:7], v[2:3], v[14:15]
	v_fma_f64 v[4:5], v[2:3], v[8:9], -v[4:5]
	v_mov_b32_e32 v9, s7
	v_add_co_u32_e32 v8, vcc, s6, v0
	v_addc_co_u32_e32 v9, vcc, v1, v9, vcc
	v_add_co_u32_e32 v0, vcc, s0, v21
	v_mul_f64 v[2:3], v[6:7], s[2:3]
	v_mul_f64 v[4:5], v[4:5], s[2:3]
	v_addc_co_u32_e32 v1, vcc, 0, v22, vcc
	s_movk_i32 s0, 0x2000
	global_store_dwordx4 v[8:9], v[2:5], off
	global_load_dwordx4 v[0:3], v[0:1], off offset:2240
	ds_read_b128 v[4:7], v160 offset:6336
	ds_read_b128 v[14:17], v160 offset:9792
	s_waitcnt vmcnt(0) lgkmcnt(1)
	v_mul_f64 v[18:19], v[6:7], v[2:3]
	v_mul_f64 v[2:3], v[4:5], v[2:3]
	v_fma_f64 v[4:5], v[4:5], v[0:1], v[18:19]
	v_fma_f64 v[2:3], v[0:1], v[6:7], -v[2:3]
	v_mul_f64 v[0:1], v[4:5], s[2:3]
	v_mul_f64 v[2:3], v[2:3], s[2:3]
	v_add_co_u32_e32 v4, vcc, s0, v21
	v_addc_co_u32_e32 v5, vcc, 0, v22, vcc
	v_add_co_u32_e32 v6, vcc, s4, v8
	v_addc_co_u32_e32 v7, vcc, v9, v20, vcc
	global_store_dwordx4 v[6:7], v[0:3], off
	global_load_dwordx4 v[0:3], v[4:5], off offset:1600
	s_movk_i32 s0, 0x3000
	s_waitcnt vmcnt(0) lgkmcnt(0)
	v_mul_f64 v[4:5], v[16:17], v[2:3]
	v_mul_f64 v[2:3], v[14:15], v[2:3]
	v_fma_f64 v[4:5], v[14:15], v[0:1], v[4:5]
	v_fma_f64 v[2:3], v[0:1], v[16:17], -v[2:3]
	v_mul_f64 v[0:1], v[4:5], s[2:3]
	v_mul_f64 v[2:3], v[2:3], s[2:3]
	v_add_co_u32_e32 v4, vcc, s0, v21
	v_addc_co_u32_e32 v5, vcc, 0, v22, vcc
	v_add_co_u32_e32 v8, vcc, s4, v6
	v_addc_co_u32_e32 v9, vcc, v7, v20, vcc
	global_store_dwordx4 v[8:9], v[0:3], off
	global_load_dwordx4 v[0:3], v[4:5], off offset:960
	ds_read_b128 v[4:7], v160 offset:13248
	ds_read_b128 v[14:17], v160 offset:16704
	s_movk_i32 s0, 0x4000
	s_waitcnt vmcnt(0) lgkmcnt(1)
	v_mul_f64 v[18:19], v[6:7], v[2:3]
	v_mul_f64 v[2:3], v[4:5], v[2:3]
	v_fma_f64 v[4:5], v[4:5], v[0:1], v[18:19]
	v_fma_f64 v[2:3], v[0:1], v[6:7], -v[2:3]
	v_mul_f64 v[0:1], v[4:5], s[2:3]
	v_mul_f64 v[2:3], v[2:3], s[2:3]
	v_add_co_u32_e32 v4, vcc, s0, v21
	v_addc_co_u32_e32 v5, vcc, 0, v22, vcc
	v_add_co_u32_e32 v6, vcc, s4, v8
	v_addc_co_u32_e32 v7, vcc, v9, v20, vcc
	global_store_dwordx4 v[6:7], v[0:3], off
	global_load_dwordx4 v[0:3], v[4:5], off offset:320
	s_movk_i32 s0, 0x5000
	s_waitcnt vmcnt(0) lgkmcnt(0)
	v_mul_f64 v[8:9], v[16:17], v[2:3]
	v_mul_f64 v[2:3], v[14:15], v[2:3]
	v_fma_f64 v[8:9], v[14:15], v[0:1], v[8:9]
	v_fma_f64 v[2:3], v[0:1], v[16:17], -v[2:3]
	v_mul_f64 v[0:1], v[8:9], s[2:3]
	v_mul_f64 v[2:3], v[2:3], s[2:3]
	v_add_co_u32_e32 v8, vcc, s4, v6
	v_addc_co_u32_e32 v9, vcc, v7, v20, vcc
	global_store_dwordx4 v[8:9], v[0:3], off
	global_load_dwordx4 v[0:3], v[4:5], off offset:3776
	ds_read_b128 v[4:7], v160 offset:20160
	ds_read_b128 v[14:17], v160 offset:23616
	s_waitcnt vmcnt(0) lgkmcnt(1)
	v_mul_f64 v[18:19], v[6:7], v[2:3]
	v_mul_f64 v[2:3], v[4:5], v[2:3]
	v_fma_f64 v[4:5], v[4:5], v[0:1], v[18:19]
	v_fma_f64 v[2:3], v[0:1], v[6:7], -v[2:3]
	v_mul_f64 v[0:1], v[4:5], s[2:3]
	v_mul_f64 v[2:3], v[2:3], s[2:3]
	v_add_co_u32_e32 v4, vcc, s0, v21
	v_addc_co_u32_e32 v5, vcc, 0, v22, vcc
	v_add_co_u32_e32 v6, vcc, s4, v8
	v_addc_co_u32_e32 v7, vcc, v9, v20, vcc
	global_store_dwordx4 v[6:7], v[0:3], off
	global_load_dwordx4 v[0:3], v[4:5], off offset:3136
	s_movk_i32 s0, 0x6000
	s_waitcnt vmcnt(0) lgkmcnt(0)
	v_mul_f64 v[4:5], v[16:17], v[2:3]
	v_mul_f64 v[2:3], v[14:15], v[2:3]
	v_fma_f64 v[4:5], v[14:15], v[0:1], v[4:5]
	v_fma_f64 v[2:3], v[0:1], v[16:17], -v[2:3]
	v_mul_f64 v[0:1], v[4:5], s[2:3]
	v_mul_f64 v[2:3], v[2:3], s[2:3]
	v_add_co_u32_e32 v4, vcc, s0, v21
	v_addc_co_u32_e32 v5, vcc, 0, v22, vcc
	v_add_co_u32_e32 v8, vcc, s4, v6
	v_addc_co_u32_e32 v9, vcc, v7, v20, vcc
	global_store_dwordx4 v[8:9], v[0:3], off
	global_load_dwordx4 v[0:3], v[4:5], off offset:2496
	ds_read_b128 v[4:7], v160 offset:27072
	ds_read_b128 v[14:17], v160 offset:30528
	s_movk_i32 s0, 0x7000
	s_waitcnt vmcnt(0) lgkmcnt(1)
	v_mul_f64 v[18:19], v[6:7], v[2:3]
	v_mul_f64 v[2:3], v[4:5], v[2:3]
	v_fma_f64 v[4:5], v[4:5], v[0:1], v[18:19]
	v_fma_f64 v[2:3], v[0:1], v[6:7], -v[2:3]
	v_mul_f64 v[0:1], v[4:5], s[2:3]
	v_mul_f64 v[2:3], v[2:3], s[2:3]
	v_add_co_u32_e32 v4, vcc, s0, v21
	v_addc_co_u32_e32 v5, vcc, 0, v22, vcc
	v_add_co_u32_e32 v6, vcc, s4, v8
	v_addc_co_u32_e32 v7, vcc, v9, v20, vcc
	global_store_dwordx4 v[6:7], v[0:3], off
	global_load_dwordx4 v[0:3], v[4:5], off offset:1856
	s_mov_b32 s0, 0x8000
	s_waitcnt vmcnt(0) lgkmcnt(0)
	v_mul_f64 v[4:5], v[16:17], v[2:3]
	v_mul_f64 v[2:3], v[14:15], v[2:3]
	v_fma_f64 v[4:5], v[14:15], v[0:1], v[4:5]
	v_fma_f64 v[2:3], v[0:1], v[16:17], -v[2:3]
	v_mul_f64 v[0:1], v[4:5], s[2:3]
	v_mul_f64 v[2:3], v[2:3], s[2:3]
	v_add_co_u32_e32 v4, vcc, s0, v21
	v_addc_co_u32_e32 v5, vcc, 0, v22, vcc
	v_add_co_u32_e32 v6, vcc, s4, v6
	v_addc_co_u32_e32 v7, vcc, v7, v20, vcc
	global_store_dwordx4 v[6:7], v[0:3], off
	global_load_dwordx4 v[0:3], v[4:5], off offset:1216
	s_waitcnt vmcnt(0)
	v_mul_f64 v[4:5], v[12:13], v[2:3]
	v_mul_f64 v[2:3], v[10:11], v[2:3]
	v_fma_f64 v[4:5], v[10:11], v[0:1], v[4:5]
	v_fma_f64 v[2:3], v[0:1], v[12:13], -v[2:3]
	v_mul_f64 v[0:1], v[4:5], s[2:3]
	v_mul_f64 v[2:3], v[2:3], s[2:3]
	v_add_co_u32_e32 v4, vcc, s4, v6
	v_addc_co_u32_e32 v5, vcc, v7, v20, vcc
	global_store_dwordx4 v[4:5], v[0:3], off
.LBB0_15:
	s_endpgm
	.section	.rodata,"a",@progbits
	.p2align	6, 0x0
	.amdhsa_kernel bluestein_single_fwd_len2160_dim1_dp_op_CI_CI
		.amdhsa_group_segment_fixed_size 34560
		.amdhsa_private_segment_fixed_size 1796
		.amdhsa_kernarg_size 104
		.amdhsa_user_sgpr_count 6
		.amdhsa_user_sgpr_private_segment_buffer 1
		.amdhsa_user_sgpr_dispatch_ptr 0
		.amdhsa_user_sgpr_queue_ptr 0
		.amdhsa_user_sgpr_kernarg_segment_ptr 1
		.amdhsa_user_sgpr_dispatch_id 0
		.amdhsa_user_sgpr_flat_scratch_init 0
		.amdhsa_user_sgpr_private_segment_size 0
		.amdhsa_uses_dynamic_stack 0
		.amdhsa_system_sgpr_private_segment_wavefront_offset 1
		.amdhsa_system_sgpr_workgroup_id_x 1
		.amdhsa_system_sgpr_workgroup_id_y 0
		.amdhsa_system_sgpr_workgroup_id_z 0
		.amdhsa_system_sgpr_workgroup_info 0
		.amdhsa_system_vgpr_workitem_id 0
		.amdhsa_next_free_vgpr 256
		.amdhsa_next_free_sgpr 28
		.amdhsa_reserve_vcc 1
		.amdhsa_reserve_flat_scratch 0
		.amdhsa_float_round_mode_32 0
		.amdhsa_float_round_mode_16_64 0
		.amdhsa_float_denorm_mode_32 3
		.amdhsa_float_denorm_mode_16_64 3
		.amdhsa_dx10_clamp 1
		.amdhsa_ieee_mode 1
		.amdhsa_fp16_overflow 0
		.amdhsa_exception_fp_ieee_invalid_op 0
		.amdhsa_exception_fp_denorm_src 0
		.amdhsa_exception_fp_ieee_div_zero 0
		.amdhsa_exception_fp_ieee_overflow 0
		.amdhsa_exception_fp_ieee_underflow 0
		.amdhsa_exception_fp_ieee_inexact 0
		.amdhsa_exception_int_div_zero 0
	.end_amdhsa_kernel
	.text
.Lfunc_end0:
	.size	bluestein_single_fwd_len2160_dim1_dp_op_CI_CI, .Lfunc_end0-bluestein_single_fwd_len2160_dim1_dp_op_CI_CI
                                        ; -- End function
	.section	.AMDGPU.csdata,"",@progbits
; Kernel info:
; codeLenInByte = 54124
; NumSgprs: 32
; NumVgprs: 256
; ScratchSize: 1796
; MemoryBound: 0
; FloatMode: 240
; IeeeMode: 1
; LDSByteSize: 34560 bytes/workgroup (compile time only)
; SGPRBlocks: 3
; VGPRBlocks: 63
; NumSGPRsForWavesPerEU: 32
; NumVGPRsForWavesPerEU: 256
; Occupancy: 1
; WaveLimiterHint : 1
; COMPUTE_PGM_RSRC2:SCRATCH_EN: 1
; COMPUTE_PGM_RSRC2:USER_SGPR: 6
; COMPUTE_PGM_RSRC2:TRAP_HANDLER: 0
; COMPUTE_PGM_RSRC2:TGID_X_EN: 1
; COMPUTE_PGM_RSRC2:TGID_Y_EN: 0
; COMPUTE_PGM_RSRC2:TGID_Z_EN: 0
; COMPUTE_PGM_RSRC2:TIDIG_COMP_CNT: 0
	.type	__hip_cuid_4c8ec06f77400092,@object ; @__hip_cuid_4c8ec06f77400092
	.section	.bss,"aw",@nobits
	.globl	__hip_cuid_4c8ec06f77400092
__hip_cuid_4c8ec06f77400092:
	.byte	0                               ; 0x0
	.size	__hip_cuid_4c8ec06f77400092, 1

	.ident	"AMD clang version 19.0.0git (https://github.com/RadeonOpenCompute/llvm-project roc-6.4.0 25133 c7fe45cf4b819c5991fe208aaa96edf142730f1d)"
	.section	".note.GNU-stack","",@progbits
	.addrsig
	.addrsig_sym __hip_cuid_4c8ec06f77400092
	.amdgpu_metadata
---
amdhsa.kernels:
  - .args:
      - .actual_access:  read_only
        .address_space:  global
        .offset:         0
        .size:           8
        .value_kind:     global_buffer
      - .actual_access:  read_only
        .address_space:  global
        .offset:         8
        .size:           8
        .value_kind:     global_buffer
      - .actual_access:  read_only
        .address_space:  global
        .offset:         16
        .size:           8
        .value_kind:     global_buffer
      - .actual_access:  read_only
        .address_space:  global
        .offset:         24
        .size:           8
        .value_kind:     global_buffer
      - .actual_access:  read_only
        .address_space:  global
        .offset:         32
        .size:           8
        .value_kind:     global_buffer
      - .offset:         40
        .size:           8
        .value_kind:     by_value
      - .address_space:  global
        .offset:         48
        .size:           8
        .value_kind:     global_buffer
      - .address_space:  global
        .offset:         56
        .size:           8
        .value_kind:     global_buffer
      - .address_space:  global
        .offset:         64
        .size:           8
        .value_kind:     global_buffer
      - .address_space:  global
        .offset:         72
        .size:           8
        .value_kind:     global_buffer
      - .offset:         80
        .size:           4
        .value_kind:     by_value
      - .address_space:  global
        .offset:         88
        .size:           8
        .value_kind:     global_buffer
      - .address_space:  global
        .offset:         96
        .size:           8
        .value_kind:     global_buffer
    .group_segment_fixed_size: 34560
    .kernarg_segment_align: 8
    .kernarg_segment_size: 104
    .language:       OpenCL C
    .language_version:
      - 2
      - 0
    .max_flat_workgroup_size: 60
    .name:           bluestein_single_fwd_len2160_dim1_dp_op_CI_CI
    .private_segment_fixed_size: 1796
    .sgpr_count:     32
    .sgpr_spill_count: 0
    .symbol:         bluestein_single_fwd_len2160_dim1_dp_op_CI_CI.kd
    .uniform_work_group_size: 1
    .uses_dynamic_stack: false
    .vgpr_count:     256
    .vgpr_spill_count: 464
    .wavefront_size: 64
amdhsa.target:   amdgcn-amd-amdhsa--gfx906
amdhsa.version:
  - 1
  - 2
...

	.end_amdgpu_metadata
